;; amdgpu-corpus repo=ROCm/rocFFT kind=compiled arch=gfx1100 opt=O3
	.text
	.amdgcn_target "amdgcn-amd-amdhsa--gfx1100"
	.amdhsa_code_object_version 6
	.protected	fft_rtc_back_len3200_factors_10_10_4_4_2_wgs_160_tpt_160_halfLds_half_ip_CI_unitstride_sbrr_dirReg ; -- Begin function fft_rtc_back_len3200_factors_10_10_4_4_2_wgs_160_tpt_160_halfLds_half_ip_CI_unitstride_sbrr_dirReg
	.globl	fft_rtc_back_len3200_factors_10_10_4_4_2_wgs_160_tpt_160_halfLds_half_ip_CI_unitstride_sbrr_dirReg
	.p2align	8
	.type	fft_rtc_back_len3200_factors_10_10_4_4_2_wgs_160_tpt_160_halfLds_half_ip_CI_unitstride_sbrr_dirReg,@function
fft_rtc_back_len3200_factors_10_10_4_4_2_wgs_160_tpt_160_halfLds_half_ip_CI_unitstride_sbrr_dirReg: ; @fft_rtc_back_len3200_factors_10_10_4_4_2_wgs_160_tpt_160_halfLds_half_ip_CI_unitstride_sbrr_dirReg
; %bb.0:
	s_clause 0x2
	s_load_b128 s[4:7], s[0:1], 0x0
	s_load_b64 s[8:9], s[0:1], 0x50
	s_load_b64 s[10:11], s[0:1], 0x18
	v_mul_u32_u24_e32 v1, 0x19a, v0
	v_mov_b32_e32 v3, 0
	v_mov_b32_e32 v4, 0
	s_delay_alu instid0(VALU_DEP_3) | instskip(SKIP_1) | instid1(VALU_DEP_1)
	v_lshrrev_b32_e32 v2, 16, v1
	v_mov_b32_e32 v1, 0
	v_dual_mov_b32 v6, v1 :: v_dual_add_nc_u32 v5, s15, v2
	s_waitcnt lgkmcnt(0)
	v_cmp_lt_u64_e64 s2, s[6:7], 2
	s_delay_alu instid0(VALU_DEP_1)
	s_and_b32 vcc_lo, exec_lo, s2
	s_cbranch_vccnz .LBB0_8
; %bb.1:
	s_load_b64 s[2:3], s[0:1], 0x10
	v_mov_b32_e32 v3, 0
	s_add_u32 s12, s10, 8
	v_mov_b32_e32 v4, 0
	s_addc_u32 s13, s11, 0
	s_mov_b64 s[16:17], 1
	s_waitcnt lgkmcnt(0)
	s_add_u32 s14, s2, 8
	s_addc_u32 s15, s3, 0
.LBB0_2:                                ; =>This Inner Loop Header: Depth=1
	s_load_b64 s[18:19], s[14:15], 0x0
                                        ; implicit-def: $vgpr7_vgpr8
	s_mov_b32 s2, exec_lo
	s_waitcnt lgkmcnt(0)
	v_or_b32_e32 v2, s19, v6
	s_delay_alu instid0(VALU_DEP_1)
	v_cmpx_ne_u64_e32 0, v[1:2]
	s_xor_b32 s3, exec_lo, s2
	s_cbranch_execz .LBB0_4
; %bb.3:                                ;   in Loop: Header=BB0_2 Depth=1
	v_cvt_f32_u32_e32 v2, s18
	v_cvt_f32_u32_e32 v7, s19
	s_sub_u32 s2, 0, s18
	s_subb_u32 s20, 0, s19
	s_delay_alu instid0(VALU_DEP_1) | instskip(NEXT) | instid1(VALU_DEP_1)
	v_fmac_f32_e32 v2, 0x4f800000, v7
	v_rcp_f32_e32 v2, v2
	s_waitcnt_depctr 0xfff
	v_mul_f32_e32 v2, 0x5f7ffffc, v2
	s_delay_alu instid0(VALU_DEP_1) | instskip(NEXT) | instid1(VALU_DEP_1)
	v_mul_f32_e32 v7, 0x2f800000, v2
	v_trunc_f32_e32 v7, v7
	s_delay_alu instid0(VALU_DEP_1) | instskip(SKIP_1) | instid1(VALU_DEP_2)
	v_fmac_f32_e32 v2, 0xcf800000, v7
	v_cvt_u32_f32_e32 v7, v7
	v_cvt_u32_f32_e32 v2, v2
	s_delay_alu instid0(VALU_DEP_2) | instskip(NEXT) | instid1(VALU_DEP_2)
	v_mul_lo_u32 v8, s2, v7
	v_mul_hi_u32 v9, s2, v2
	v_mul_lo_u32 v10, s20, v2
	s_delay_alu instid0(VALU_DEP_2) | instskip(SKIP_1) | instid1(VALU_DEP_2)
	v_add_nc_u32_e32 v8, v9, v8
	v_mul_lo_u32 v9, s2, v2
	v_add_nc_u32_e32 v8, v8, v10
	s_delay_alu instid0(VALU_DEP_2) | instskip(NEXT) | instid1(VALU_DEP_2)
	v_mul_hi_u32 v10, v2, v9
	v_mul_lo_u32 v11, v2, v8
	v_mul_hi_u32 v12, v2, v8
	v_mul_hi_u32 v13, v7, v9
	v_mul_lo_u32 v9, v7, v9
	v_mul_hi_u32 v14, v7, v8
	v_mul_lo_u32 v8, v7, v8
	v_add_co_u32 v10, vcc_lo, v10, v11
	v_add_co_ci_u32_e32 v11, vcc_lo, 0, v12, vcc_lo
	s_delay_alu instid0(VALU_DEP_2) | instskip(NEXT) | instid1(VALU_DEP_2)
	v_add_co_u32 v9, vcc_lo, v10, v9
	v_add_co_ci_u32_e32 v9, vcc_lo, v11, v13, vcc_lo
	v_add_co_ci_u32_e32 v10, vcc_lo, 0, v14, vcc_lo
	s_delay_alu instid0(VALU_DEP_2) | instskip(NEXT) | instid1(VALU_DEP_2)
	v_add_co_u32 v8, vcc_lo, v9, v8
	v_add_co_ci_u32_e32 v9, vcc_lo, 0, v10, vcc_lo
	s_delay_alu instid0(VALU_DEP_2) | instskip(NEXT) | instid1(VALU_DEP_2)
	v_add_co_u32 v2, vcc_lo, v2, v8
	v_add_co_ci_u32_e32 v7, vcc_lo, v7, v9, vcc_lo
	s_delay_alu instid0(VALU_DEP_2) | instskip(SKIP_1) | instid1(VALU_DEP_3)
	v_mul_hi_u32 v8, s2, v2
	v_mul_lo_u32 v10, s20, v2
	v_mul_lo_u32 v9, s2, v7
	s_delay_alu instid0(VALU_DEP_1) | instskip(SKIP_1) | instid1(VALU_DEP_2)
	v_add_nc_u32_e32 v8, v8, v9
	v_mul_lo_u32 v9, s2, v2
	v_add_nc_u32_e32 v8, v8, v10
	s_delay_alu instid0(VALU_DEP_2) | instskip(NEXT) | instid1(VALU_DEP_2)
	v_mul_hi_u32 v10, v2, v9
	v_mul_lo_u32 v11, v2, v8
	v_mul_hi_u32 v12, v2, v8
	v_mul_hi_u32 v13, v7, v9
	v_mul_lo_u32 v9, v7, v9
	v_mul_hi_u32 v14, v7, v8
	v_mul_lo_u32 v8, v7, v8
	v_add_co_u32 v10, vcc_lo, v10, v11
	v_add_co_ci_u32_e32 v11, vcc_lo, 0, v12, vcc_lo
	s_delay_alu instid0(VALU_DEP_2) | instskip(NEXT) | instid1(VALU_DEP_2)
	v_add_co_u32 v9, vcc_lo, v10, v9
	v_add_co_ci_u32_e32 v9, vcc_lo, v11, v13, vcc_lo
	v_add_co_ci_u32_e32 v10, vcc_lo, 0, v14, vcc_lo
	s_delay_alu instid0(VALU_DEP_2) | instskip(NEXT) | instid1(VALU_DEP_2)
	v_add_co_u32 v8, vcc_lo, v9, v8
	v_add_co_ci_u32_e32 v9, vcc_lo, 0, v10, vcc_lo
	s_delay_alu instid0(VALU_DEP_2) | instskip(NEXT) | instid1(VALU_DEP_2)
	v_add_co_u32 v2, vcc_lo, v2, v8
	v_add_co_ci_u32_e32 v13, vcc_lo, v7, v9, vcc_lo
	s_delay_alu instid0(VALU_DEP_2) | instskip(SKIP_1) | instid1(VALU_DEP_3)
	v_mul_hi_u32 v14, v5, v2
	v_mad_u64_u32 v[9:10], null, v6, v2, 0
	v_mad_u64_u32 v[7:8], null, v5, v13, 0
	;; [unrolled: 1-line block ×3, first 2 shown]
	s_delay_alu instid0(VALU_DEP_2) | instskip(NEXT) | instid1(VALU_DEP_3)
	v_add_co_u32 v2, vcc_lo, v14, v7
	v_add_co_ci_u32_e32 v7, vcc_lo, 0, v8, vcc_lo
	s_delay_alu instid0(VALU_DEP_2) | instskip(NEXT) | instid1(VALU_DEP_2)
	v_add_co_u32 v2, vcc_lo, v2, v9
	v_add_co_ci_u32_e32 v2, vcc_lo, v7, v10, vcc_lo
	v_add_co_ci_u32_e32 v7, vcc_lo, 0, v12, vcc_lo
	s_delay_alu instid0(VALU_DEP_2) | instskip(NEXT) | instid1(VALU_DEP_2)
	v_add_co_u32 v2, vcc_lo, v2, v11
	v_add_co_ci_u32_e32 v9, vcc_lo, 0, v7, vcc_lo
	s_delay_alu instid0(VALU_DEP_2) | instskip(SKIP_1) | instid1(VALU_DEP_3)
	v_mul_lo_u32 v10, s19, v2
	v_mad_u64_u32 v[7:8], null, s18, v2, 0
	v_mul_lo_u32 v11, s18, v9
	s_delay_alu instid0(VALU_DEP_2) | instskip(NEXT) | instid1(VALU_DEP_2)
	v_sub_co_u32 v7, vcc_lo, v5, v7
	v_add3_u32 v8, v8, v11, v10
	s_delay_alu instid0(VALU_DEP_1) | instskip(NEXT) | instid1(VALU_DEP_1)
	v_sub_nc_u32_e32 v10, v6, v8
	v_subrev_co_ci_u32_e64 v10, s2, s19, v10, vcc_lo
	v_add_co_u32 v11, s2, v2, 2
	s_delay_alu instid0(VALU_DEP_1) | instskip(SKIP_3) | instid1(VALU_DEP_3)
	v_add_co_ci_u32_e64 v12, s2, 0, v9, s2
	v_sub_co_u32 v13, s2, v7, s18
	v_sub_co_ci_u32_e32 v8, vcc_lo, v6, v8, vcc_lo
	v_subrev_co_ci_u32_e64 v10, s2, 0, v10, s2
	v_cmp_le_u32_e32 vcc_lo, s18, v13
	s_delay_alu instid0(VALU_DEP_3) | instskip(SKIP_1) | instid1(VALU_DEP_4)
	v_cmp_eq_u32_e64 s2, s19, v8
	v_cndmask_b32_e64 v13, 0, -1, vcc_lo
	v_cmp_le_u32_e32 vcc_lo, s19, v10
	v_cndmask_b32_e64 v14, 0, -1, vcc_lo
	v_cmp_le_u32_e32 vcc_lo, s18, v7
	;; [unrolled: 2-line block ×3, first 2 shown]
	v_cndmask_b32_e64 v15, 0, -1, vcc_lo
	v_cmp_eq_u32_e32 vcc_lo, s19, v10
	s_delay_alu instid0(VALU_DEP_2) | instskip(SKIP_3) | instid1(VALU_DEP_3)
	v_cndmask_b32_e64 v7, v15, v7, s2
	v_cndmask_b32_e32 v10, v14, v13, vcc_lo
	v_add_co_u32 v13, vcc_lo, v2, 1
	v_add_co_ci_u32_e32 v14, vcc_lo, 0, v9, vcc_lo
	v_cmp_ne_u32_e32 vcc_lo, 0, v10
	s_delay_alu instid0(VALU_DEP_2) | instskip(NEXT) | instid1(VALU_DEP_4)
	v_cndmask_b32_e32 v8, v14, v12, vcc_lo
	v_cndmask_b32_e32 v10, v13, v11, vcc_lo
	v_cmp_ne_u32_e32 vcc_lo, 0, v7
	s_delay_alu instid0(VALU_DEP_2)
	v_dual_cndmask_b32 v7, v2, v10 :: v_dual_cndmask_b32 v8, v9, v8
.LBB0_4:                                ;   in Loop: Header=BB0_2 Depth=1
	s_and_not1_saveexec_b32 s2, s3
	s_cbranch_execz .LBB0_6
; %bb.5:                                ;   in Loop: Header=BB0_2 Depth=1
	v_cvt_f32_u32_e32 v2, s18
	s_sub_i32 s3, 0, s18
	s_delay_alu instid0(VALU_DEP_1) | instskip(SKIP_2) | instid1(VALU_DEP_1)
	v_rcp_iflag_f32_e32 v2, v2
	s_waitcnt_depctr 0xfff
	v_mul_f32_e32 v2, 0x4f7ffffe, v2
	v_cvt_u32_f32_e32 v2, v2
	s_delay_alu instid0(VALU_DEP_1) | instskip(NEXT) | instid1(VALU_DEP_1)
	v_mul_lo_u32 v7, s3, v2
	v_mul_hi_u32 v7, v2, v7
	s_delay_alu instid0(VALU_DEP_1) | instskip(NEXT) | instid1(VALU_DEP_1)
	v_add_nc_u32_e32 v2, v2, v7
	v_mul_hi_u32 v2, v5, v2
	s_delay_alu instid0(VALU_DEP_1) | instskip(SKIP_1) | instid1(VALU_DEP_2)
	v_mul_lo_u32 v7, v2, s18
	v_add_nc_u32_e32 v8, 1, v2
	v_sub_nc_u32_e32 v7, v5, v7
	s_delay_alu instid0(VALU_DEP_1) | instskip(SKIP_1) | instid1(VALU_DEP_2)
	v_subrev_nc_u32_e32 v9, s18, v7
	v_cmp_le_u32_e32 vcc_lo, s18, v7
	v_dual_cndmask_b32 v7, v7, v9 :: v_dual_cndmask_b32 v2, v2, v8
	s_delay_alu instid0(VALU_DEP_1) | instskip(NEXT) | instid1(VALU_DEP_2)
	v_cmp_le_u32_e32 vcc_lo, s18, v7
	v_add_nc_u32_e32 v8, 1, v2
	s_delay_alu instid0(VALU_DEP_1)
	v_dual_cndmask_b32 v7, v2, v8 :: v_dual_mov_b32 v8, v1
.LBB0_6:                                ;   in Loop: Header=BB0_2 Depth=1
	s_or_b32 exec_lo, exec_lo, s2
	s_load_b64 s[2:3], s[12:13], 0x0
	s_delay_alu instid0(VALU_DEP_1) | instskip(NEXT) | instid1(VALU_DEP_2)
	v_mul_lo_u32 v2, v8, s18
	v_mul_lo_u32 v11, v7, s19
	v_mad_u64_u32 v[9:10], null, v7, s18, 0
	s_add_u32 s16, s16, 1
	s_addc_u32 s17, s17, 0
	s_add_u32 s12, s12, 8
	s_addc_u32 s13, s13, 0
	;; [unrolled: 2-line block ×3, first 2 shown]
	s_delay_alu instid0(VALU_DEP_1) | instskip(SKIP_1) | instid1(VALU_DEP_2)
	v_add3_u32 v2, v10, v11, v2
	v_sub_co_u32 v9, vcc_lo, v5, v9
	v_sub_co_ci_u32_e32 v2, vcc_lo, v6, v2, vcc_lo
	s_waitcnt lgkmcnt(0)
	s_delay_alu instid0(VALU_DEP_2) | instskip(NEXT) | instid1(VALU_DEP_2)
	v_mul_lo_u32 v10, s3, v9
	v_mul_lo_u32 v2, s2, v2
	v_mad_u64_u32 v[5:6], null, s2, v9, v[3:4]
	v_cmp_ge_u64_e64 s2, s[16:17], s[6:7]
	s_delay_alu instid0(VALU_DEP_1) | instskip(NEXT) | instid1(VALU_DEP_2)
	s_and_b32 vcc_lo, exec_lo, s2
	v_add3_u32 v4, v10, v6, v2
	s_delay_alu instid0(VALU_DEP_3)
	v_mov_b32_e32 v3, v5
	s_cbranch_vccnz .LBB0_9
; %bb.7:                                ;   in Loop: Header=BB0_2 Depth=1
	v_dual_mov_b32 v5, v7 :: v_dual_mov_b32 v6, v8
	s_branch .LBB0_2
.LBB0_8:
	v_dual_mov_b32 v8, v6 :: v_dual_mov_b32 v7, v5
.LBB0_9:
	s_lshl_b64 s[2:3], s[6:7], 3
	v_mul_hi_u32 v1, 0x199999a, v0
	s_add_u32 s2, s10, s2
	s_addc_u32 s3, s11, s3
	s_load_b64 s[2:3], s[2:3], 0x0
	s_load_b64 s[0:1], s[0:1], 0x20
	s_delay_alu instid0(VALU_DEP_1) | instskip(NEXT) | instid1(VALU_DEP_1)
	v_mul_u32_u24_e32 v1, 0xa0, v1
	v_sub_nc_u32_e32 v2, v0, v1
	s_delay_alu instid0(VALU_DEP_1)
	v_or_b32_e32 v0, 0x500, v2
	s_waitcnt lgkmcnt(0)
	v_mul_lo_u32 v5, s2, v8
	v_mul_lo_u32 v6, s3, v7
	v_mad_u64_u32 v[9:10], null, s2, v7, v[3:4]
	v_cmp_gt_u64_e32 vcc_lo, s[0:1], v[7:8]
	v_cmp_le_u64_e64 s0, s[0:1], v[7:8]
	s_delay_alu instid0(VALU_DEP_3) | instskip(NEXT) | instid1(VALU_DEP_2)
	v_add3_u32 v10, v6, v10, v5
                                        ; implicit-def: $vgpr6
	s_and_saveexec_b32 s1, s0
	s_delay_alu instid0(SALU_CYCLE_1)
	s_xor_b32 s0, exec_lo, s1
; %bb.10:
	v_or_b32_e32 v6, 0x500, v2
; %bb.11:
	s_or_saveexec_b32 s1, s0
	v_lshlrev_b64 v[4:5], 2, v[9:10]
                                        ; implicit-def: $vgpr26
                                        ; implicit-def: $vgpr18
                                        ; implicit-def: $vgpr28
                                        ; implicit-def: $vgpr25
                                        ; implicit-def: $vgpr41
                                        ; implicit-def: $vgpr39
                                        ; implicit-def: $vgpr36
                                        ; implicit-def: $vgpr29
                                        ; implicit-def: $vgpr42
                                        ; implicit-def: $vgpr37
                                        ; implicit-def: $vgpr34
                                        ; implicit-def: $vgpr30
                                        ; implicit-def: $vgpr43
                                        ; implicit-def: $vgpr38
                                        ; implicit-def: $vgpr35
                                        ; implicit-def: $vgpr31
                                        ; implicit-def: $vgpr44
                                        ; implicit-def: $vgpr40
                                        ; implicit-def: $vgpr33
                                        ; implicit-def: $vgpr32
                                        ; implicit-def: $vgpr7
                                        ; implicit-def: $vgpr1
                                        ; implicit-def: $vgpr8
                                        ; implicit-def: $vgpr3
                                        ; implicit-def: $vgpr21
                                        ; implicit-def: $vgpr17
                                        ; implicit-def: $vgpr15
                                        ; implicit-def: $vgpr9
                                        ; implicit-def: $vgpr22
                                        ; implicit-def: $vgpr19
                                        ; implicit-def: $vgpr12
                                        ; implicit-def: $vgpr11
                                        ; implicit-def: $vgpr23
                                        ; implicit-def: $vgpr20
                                        ; implicit-def: $vgpr13
                                        ; implicit-def: $vgpr14
                                        ; implicit-def: $vgpr24
                                        ; implicit-def: $vgpr27
                                        ; implicit-def: $vgpr10
                                        ; implicit-def: $vgpr16
	s_xor_b32 exec_lo, exec_lo, s1
	s_cbranch_execz .LBB0_13
; %bb.12:
	v_mov_b32_e32 v3, 0
	s_delay_alu instid0(VALU_DEP_2) | instskip(NEXT) | instid1(VALU_DEP_1)
	v_add_co_u32 v14, s0, s8, v4
	v_add_co_ci_u32_e64 v15, s0, s9, v5, s0
	s_delay_alu instid0(VALU_DEP_3) | instskip(SKIP_2) | instid1(VALU_DEP_3)
	v_mov_b32_e32 v1, v3
	v_lshlrev_b64 v[6:7], 2, v[2:3]
	v_or_b32_e32 v8, 0xa00, v2
	v_lshlrev_b64 v[9:10], 2, v[0:1]
	s_delay_alu instid0(VALU_DEP_3) | instskip(NEXT) | instid1(VALU_DEP_1)
	v_add_co_u32 v6, s0, v14, v6
	v_add_co_ci_u32_e64 v7, s0, v15, v7, s0
	s_delay_alu instid0(VALU_DEP_3)
	v_add_co_u32 v11, s0, v14, v9
	v_mov_b32_e32 v9, v3
	v_add_co_ci_u32_e64 v12, s0, v15, v10, s0
	s_clause 0x3
	global_load_b32 v18, v[6:7], off
	global_load_b32 v25, v[6:7], off offset:1280
	global_load_b32 v39, v[6:7], off offset:2560
	global_load_b32 v37, v[11:12], off
	v_add_co_u32 v12, s0, 0x1000, v6
	v_lshlrev_b64 v[8:9], 2, v[8:9]
	v_add_co_ci_u32_e64 v13, s0, 0, v7, s0
	v_add_co_u32 v21, s0, 0x2000, v6
	s_delay_alu instid0(VALU_DEP_1) | instskip(NEXT) | instid1(VALU_DEP_4)
	v_add_co_ci_u32_e64 v22, s0, 0, v7, s0
	v_add_co_u32 v8, s0, v14, v8
	s_delay_alu instid0(VALU_DEP_1)
	v_add_co_ci_u32_e64 v9, s0, v15, v9, s0
	s_clause 0xf
	global_load_b32 v30, v[12:13], off offset:2304
	global_load_b32 v38, v[12:13], off offset:3584
	;; [unrolled: 1-line block ×4, first 2 shown]
	global_load_b32 v40, v[8:9], off
	global_load_b32 v32, v[21:22], off offset:3328
	global_load_b32 v17, v[6:7], off offset:3200
	;; [unrolled: 1-line block ×11, first 2 shown]
	v_mov_b32_e32 v6, v0
	s_waitcnt vmcnt(19)
	v_lshrrev_b32_e32 v26, 16, v18
	s_waitcnt vmcnt(18)
	v_lshrrev_b32_e32 v28, 16, v25
	;; [unrolled: 2-line block ×5, first 2 shown]
	v_lshrrev_b32_e32 v34, 16, v30
	v_lshrrev_b32_e32 v43, 16, v38
	s_waitcnt vmcnt(12)
	v_lshrrev_b32_e32 v35, 16, v31
	s_waitcnt vmcnt(11)
	v_lshrrev_b32_e32 v44, 16, v40
	s_waitcnt vmcnt(10)
	v_lshrrev_b32_e32 v33, 16, v32
	s_waitcnt vmcnt(7)
	v_lshrrev_b32_e32 v7, 16, v1
	v_lshrrev_b32_e32 v8, 16, v3
	;; [unrolled: 1-line block ×3, first 2 shown]
	s_waitcnt vmcnt(6)
	v_lshrrev_b32_e32 v15, 16, v9
	s_waitcnt vmcnt(3)
	v_lshrrev_b32_e32 v12, 16, v11
	;; [unrolled: 2-line block ×3, first 2 shown]
	v_lshrrev_b32_e32 v23, 16, v20
	v_lshrrev_b32_e32 v13, 16, v14
	s_waitcnt vmcnt(0)
	v_lshrrev_b32_e32 v24, 16, v27
	v_lshrrev_b32_e32 v10, 16, v16
.LBB0_13:
	s_or_b32 exec_lo, exec_lo, s1
	v_add_f16_e32 v45, v37, v38
	v_add_f16_e32 v46, v18, v39
	v_sub_f16_e32 v47, v41, v44
	v_add_f16_e32 v51, v39, v40
	v_sub_f16_e32 v48, v42, v43
	v_fma_f16 v45, -0.5, v45, v18
	v_add_f16_e32 v46, v46, v37
	v_add_f16_e32 v54, v26, v41
	v_fmac_f16_e32 v18, -0.5, v51
	v_sub_f16_e32 v49, v39, v37
	v_fmamk_f16 v53, v47, 0xbb9c, v45
	v_fmac_f16_e32 v45, 0x3b9c, v47
	v_sub_f16_e32 v50, v40, v38
	v_add_f16_e32 v46, v46, v38
	v_fmamk_f16 v51, v48, 0x3b9c, v18
	v_fmac_f16_e32 v53, 0xb8b4, v48
	v_fmac_f16_e32 v45, 0x38b4, v48
	;; [unrolled: 1-line block ×3, first 2 shown]
	v_add_f16_e32 v48, v54, v42
	v_sub_f16_e32 v52, v37, v39
	v_add_f16_e32 v49, v49, v50
	v_sub_f16_e32 v50, v38, v40
	v_add_f16_e32 v46, v46, v40
	v_add_f16_e32 v55, v42, v43
	v_sub_f16_e32 v39, v39, v40
	v_add_f16_e32 v40, v48, v43
	v_add_f16_e32 v48, v41, v44
	;; [unrolled: 1-line block ×3, first 2 shown]
	v_fma_f16 v52, -0.5, v55, v26
	v_sub_f16_e32 v37, v37, v38
	v_fmac_f16_e32 v53, 0x34f2, v49
	v_fmac_f16_e32 v26, -0.5, v48
	v_fmac_f16_e32 v51, 0xb8b4, v47
	v_fmac_f16_e32 v45, 0x34f2, v49
	;; [unrolled: 1-line block ×3, first 2 shown]
	v_fmamk_f16 v47, v39, 0x3b9c, v52
	v_sub_f16_e32 v38, v41, v42
	v_sub_f16_e32 v49, v44, v43
	v_fmac_f16_e32 v52, 0xbb9c, v39
	v_fmamk_f16 v48, v37, 0xbb9c, v26
	v_sub_f16_e32 v41, v42, v41
	v_sub_f16_e32 v42, v43, v44
	v_fmac_f16_e32 v26, 0x3b9c, v37
	v_fmac_f16_e32 v47, 0x38b4, v37
	v_add_f16_e32 v38, v38, v49
	v_fmac_f16_e32 v52, 0xb8b4, v37
	v_fmac_f16_e32 v48, 0x38b4, v39
	v_add_f16_e32 v41, v41, v42
	v_add_f16_e32 v42, v30, v31
	v_fmac_f16_e32 v26, 0xb8b4, v39
	v_add_f16_e32 v39, v29, v32
	v_fmac_f16_e32 v47, 0x34f2, v38
	;; [unrolled: 2-line block ×3, first 2 shown]
	v_fmac_f16_e32 v48, 0x34f2, v41
	v_fma_f16 v38, -0.5, v42, v25
	v_sub_f16_e32 v42, v36, v33
	v_fmac_f16_e32 v26, 0x34f2, v41
	v_sub_f16_e32 v41, v34, v35
	v_fmac_f16_e32 v25, -0.5, v39
	v_add_f16_e32 v37, v43, v30
	v_fmamk_f16 v39, v42, 0xbb9c, v38
	v_fmac_f16_e32 v38, 0x3b9c, v42
	v_fmac_f16_e32 v51, 0x34f2, v50
	v_fmamk_f16 v49, v41, 0x3b9c, v25
	v_fmac_f16_e32 v25, 0xbb9c, v41
	v_fmac_f16_e32 v18, 0x34f2, v50
	v_add_f16_e32 v40, v40, v44
	v_add_f16_e32 v37, v37, v31
	v_sub_f16_e32 v43, v29, v30
	v_sub_f16_e32 v44, v32, v31
	;; [unrolled: 1-line block ×4, first 2 shown]
	v_fmac_f16_e32 v39, 0xb8b4, v41
	v_fmac_f16_e32 v38, 0x38b4, v41
	;; [unrolled: 1-line block ×3, first 2 shown]
	v_add_f16_e32 v41, v34, v35
	v_fmac_f16_e32 v25, 0x38b4, v42
	v_add_f16_e32 v42, v36, v33
	v_add_f16_e32 v37, v37, v32
	;; [unrolled: 1-line block ×4, first 2 shown]
	v_fma_f16 v41, -0.5, v41, v28
	v_sub_f16_e32 v29, v29, v32
	v_add_f16_e32 v32, v28, v36
	v_sub_f16_e32 v30, v30, v31
	v_fmac_f16_e32 v28, -0.5, v42
	v_fmac_f16_e32 v39, 0x34f2, v43
	v_fmac_f16_e32 v38, 0x34f2, v43
	;; [unrolled: 1-line block ×4, first 2 shown]
	v_fmamk_f16 v31, v29, 0x3b9c, v41
	v_sub_f16_e32 v42, v36, v34
	v_sub_f16_e32 v43, v33, v35
	v_fmamk_f16 v44, v30, 0xbb9c, v28
	v_sub_f16_e32 v36, v34, v36
	v_sub_f16_e32 v50, v35, v33
	v_fmac_f16_e32 v28, 0x3b9c, v30
	v_fmac_f16_e32 v31, 0x38b4, v30
	v_add_f16_e32 v42, v42, v43
	v_fmac_f16_e32 v44, 0x38b4, v29
	v_add_f16_e32 v36, v36, v50
	v_fmac_f16_e32 v28, 0xb8b4, v29
	v_fmac_f16_e32 v41, 0xbb9c, v29
	v_add_f16_e32 v29, v32, v34
	v_fmac_f16_e32 v31, 0x34f2, v42
	v_fmac_f16_e32 v44, 0x34f2, v36
	;; [unrolled: 1-line block ×4, first 2 shown]
	v_add_f16_e32 v29, v29, v35
	v_mul_f16_e32 v30, 0xb8b4, v31
	v_mul_f16_e32 v32, 0xbb9c, v44
	;; [unrolled: 1-line block ×3, first 2 shown]
	v_fmac_f16_e32 v41, 0x34f2, v42
	v_add_f16_e32 v29, v29, v33
	v_fmac_f16_e32 v30, 0x3a79, v39
	v_fmac_f16_e32 v32, 0x34f2, v49
	;; [unrolled: 1-line block ×3, first 2 shown]
	v_mul_f16_e32 v33, 0xb8b4, v41
	v_mul_f16_e32 v49, 0x3b9c, v49
	v_add_f16_e32 v35, v46, v37
	v_add_f16_e32 v36, v53, v30
	;; [unrolled: 1-line block ×3, first 2 shown]
	v_fmac_f16_e32 v33, 0xba79, v38
	v_mul_f16_e32 v31, 0x3a79, v31
	v_mul_f16_e32 v28, 0xb4f2, v28
	;; [unrolled: 1-line block ×3, first 2 shown]
	v_fmac_f16_e32 v49, 0x34f2, v44
	v_sub_f16_e32 v37, v46, v37
	v_sub_f16_e32 v30, v53, v30
	v_add_f16_e32 v46, v19, v20
	v_sub_f16_e32 v18, v18, v34
	v_add_f16_e32 v34, v1, v17
	v_add_f16_e32 v53, v17, v27
	;; [unrolled: 1-line block ×4, first 2 shown]
	v_fmac_f16_e32 v31, 0x38b4, v39
	v_fmac_f16_e32 v28, 0x3b9c, v25
	;; [unrolled: 1-line block ×3, first 2 shown]
	v_add_f16_e32 v25, v40, v29
	v_add_f16_e32 v39, v48, v49
	v_sub_f16_e32 v32, v51, v32
	v_sub_f16_e32 v33, v45, v33
	v_fma_f16 v45, -0.5, v46, v1
	v_sub_f16_e32 v46, v21, v24
	v_sub_f16_e32 v29, v40, v29
	;; [unrolled: 1-line block ×3, first 2 shown]
	v_add_f16_e32 v34, v34, v19
	v_sub_f16_e32 v48, v22, v23
	v_sub_f16_e32 v49, v17, v19
	;; [unrolled: 1-line block ×3, first 2 shown]
	v_fmac_f16_e32 v1, -0.5, v53
	v_add_f16_e32 v38, v47, v31
	v_add_f16_e32 v44, v26, v28
	;; [unrolled: 1-line block ×3, first 2 shown]
	v_sub_f16_e32 v31, v47, v31
	v_fmamk_f16 v47, v46, 0xbb9c, v45
	v_sub_f16_e32 v26, v26, v28
	v_add_f16_e32 v28, v34, v20
	v_add_f16_e32 v34, v49, v51
	v_sub_f16_e32 v41, v52, v41
	v_fmac_f16_e32 v45, 0x3b9c, v46
	v_fmamk_f16 v49, v48, 0x3b9c, v1
	v_sub_f16_e32 v51, v19, v17
	v_sub_f16_e32 v52, v20, v27
	v_add_f16_e32 v53, v7, v21
	v_add_f16_e32 v55, v22, v23
	v_fmac_f16_e32 v1, 0xbb9c, v48
	v_fmac_f16_e32 v47, 0xb8b4, v48
	;; [unrolled: 1-line block ×4, first 2 shown]
	v_add_f16_e32 v51, v51, v52
	v_add_f16_e32 v48, v53, v22
	v_fma_f16 v52, -0.5, v55, v7
	v_sub_f16_e32 v17, v17, v27
	v_fmac_f16_e32 v1, 0x38b4, v46
	v_add_f16_e32 v46, v21, v24
	v_add_f16_e32 v28, v28, v27
	v_fmac_f16_e32 v47, 0x34f2, v34
	v_fmac_f16_e32 v45, 0x34f2, v34
	v_add_f16_e32 v27, v48, v23
	v_fmamk_f16 v34, v17, 0x3b9c, v52
	v_sub_f16_e32 v19, v19, v20
	v_sub_f16_e32 v20, v21, v22
	;; [unrolled: 1-line block ×3, first 2 shown]
	v_fmac_f16_e32 v7, -0.5, v46
	v_fmac_f16_e32 v52, 0xbb9c, v17
	v_fmac_f16_e32 v34, 0x38b4, v19
	v_sub_f16_e32 v21, v22, v21
	v_add_f16_e32 v20, v20, v48
	v_fmamk_f16 v46, v19, 0xbb9c, v7
	v_sub_f16_e32 v22, v23, v24
	v_add_f16_e32 v23, v3, v9
	v_fmac_f16_e32 v52, 0xb8b4, v19
	v_fmac_f16_e32 v7, 0x3b9c, v19
	;; [unrolled: 1-line block ×4, first 2 shown]
	v_add_f16_e32 v21, v21, v22
	v_add_f16_e32 v19, v23, v11
	;; [unrolled: 1-line block ×3, first 2 shown]
	v_fmac_f16_e32 v52, 0x34f2, v20
	v_fmac_f16_e32 v7, 0xb8b4, v17
	v_add_f16_e32 v20, v9, v16
	v_fmac_f16_e32 v46, 0x34f2, v21
	v_add_f16_e32 v17, v19, v14
	v_fma_f16 v19, -0.5, v22, v3
	v_sub_f16_e32 v22, v15, v10
	v_fmac_f16_e32 v7, 0x34f2, v21
	v_sub_f16_e32 v21, v12, v13
	v_fmac_f16_e32 v3, -0.5, v20
	v_fmac_f16_e32 v49, 0x34f2, v51
	v_fmamk_f16 v20, v22, 0xbb9c, v19
	v_fmac_f16_e32 v19, 0x3b9c, v22
	v_fmac_f16_e32 v1, 0x34f2, v51
	v_fmamk_f16 v48, v21, 0x3b9c, v3
	v_fmac_f16_e32 v3, 0xbb9c, v21
	v_add_f16_e32 v27, v27, v24
	v_sub_f16_e32 v23, v9, v11
	v_sub_f16_e32 v24, v16, v14
	;; [unrolled: 1-line block ×4, first 2 shown]
	v_fmac_f16_e32 v20, 0xb8b4, v21
	v_fmac_f16_e32 v19, 0x38b4, v21
	;; [unrolled: 1-line block ×3, first 2 shown]
	v_add_f16_e32 v21, v12, v13
	v_fmac_f16_e32 v3, 0x38b4, v22
	v_add_f16_e32 v22, v15, v10
	v_add_f16_e32 v17, v17, v16
	;; [unrolled: 1-line block ×4, first 2 shown]
	v_fma_f16 v21, -0.5, v21, v8
	v_sub_f16_e32 v9, v9, v16
	v_add_f16_e32 v16, v8, v15
	v_sub_f16_e32 v11, v11, v14
	v_fmac_f16_e32 v8, -0.5, v22
	v_fmac_f16_e32 v48, 0x34f2, v24
	v_fmac_f16_e32 v3, 0x34f2, v24
	v_sub_f16_e32 v22, v15, v12
	v_sub_f16_e32 v15, v12, v15
	v_fmamk_f16 v24, v11, 0xbb9c, v8
	v_sub_f16_e32 v51, v13, v10
	v_fmac_f16_e32 v8, 0x3b9c, v11
	v_fmac_f16_e32 v20, 0x34f2, v23
	;; [unrolled: 1-line block ×3, first 2 shown]
	v_fmamk_f16 v14, v9, 0x3b9c, v21
	v_sub_f16_e32 v23, v10, v13
	v_add_f16_e32 v15, v15, v51
	v_fmac_f16_e32 v8, 0xb8b4, v9
	v_fmac_f16_e32 v21, 0xbb9c, v9
	;; [unrolled: 1-line block ×3, first 2 shown]
	v_add_f16_e32 v22, v22, v23
	v_fmac_f16_e32 v24, 0x38b4, v9
	v_add_f16_e32 v9, v16, v12
	v_fmac_f16_e32 v8, 0x34f2, v15
	v_fmac_f16_e32 v21, 0xb8b4, v11
	;; [unrolled: 1-line block ×4, first 2 shown]
	v_add_f16_e32 v9, v9, v13
	v_mul_f16_e32 v13, 0xbb9c, v8
	v_fmac_f16_e32 v21, 0x34f2, v22
	v_mul_f16_e32 v11, 0xb8b4, v14
	v_mul_f16_e32 v12, 0xbb9c, v24
	v_add_f16_e32 v9, v9, v10
	v_fmac_f16_e32 v13, 0xb4f2, v3
	v_mul_f16_e32 v10, 0xb8b4, v21
	v_fmac_f16_e32 v11, 0x3a79, v20
	v_fmac_f16_e32 v12, 0x34f2, v48
	v_mul_f16_e32 v14, 0x3a79, v14
	v_add_f16_e32 v23, v1, v13
	v_mul_f16_e32 v8, 0xb4f2, v8
	v_sub_f16_e32 v1, v1, v13
	v_mul_u32_u24_e32 v13, 10, v2
	v_fmac_f16_e32 v10, 0xba79, v19
	v_add_f16_e32 v15, v28, v17
	v_add_f16_e32 v16, v47, v11
	;; [unrolled: 1-line block ×3, first 2 shown]
	v_mul_f16_e32 v48, 0x3b9c, v48
	v_mul_f16_e32 v21, 0xba79, v21
	v_fmac_f16_e32 v14, 0x38b4, v20
	v_fmac_f16_e32 v8, 0x3b9c, v3
	v_lshl_add_u32 v13, v13, 1, 0
	v_add_f16_e32 v51, v45, v10
	v_sub_f16_e32 v17, v28, v17
	v_sub_f16_e32 v11, v47, v11
	;; [unrolled: 1-line block ×4, first 2 shown]
	v_fmac_f16_e32 v48, 0x34f2, v24
	v_fmac_f16_e32 v21, 0x38b4, v19
	v_add_f16_e32 v3, v27, v9
	v_add_f16_e32 v19, v34, v14
	;; [unrolled: 1-line block ×3, first 2 shown]
	v_sub_f16_e32 v27, v27, v9
	v_sub_f16_e32 v14, v34, v14
	;; [unrolled: 1-line block ×3, first 2 shown]
	v_pack_b32_f16 v8, v42, v43
	v_pack_b32_f16 v9, v35, v36
	v_add_nc_u32_e32 v34, 0xc80, v13
	v_pack_b32_f16 v22, v22, v23
	v_pack_b32_f16 v15, v15, v16
	v_add_nc_u32_e32 v16, 0xc88, v13
	v_pack_b32_f16 v11, v11, v12
	v_pack_b32_f16 v12, v51, v17
	;; [unrolled: 1-line block ×6, first 2 shown]
	ds_store_2addr_b32 v34, v15, v22 offset1:1
	ds_store_2addr_b32 v16, v12, v11 offset1:1
	;; [unrolled: 1-line block ×3, first 2 shown]
	ds_store_2addr_b32 v13, v23, v17 offset0:2 offset1:3
	ds_store_b32 v13, v18 offset:16
	ds_store_b32 v13, v10 offset:3216
	v_and_b32_e32 v8, 0xff, v2
	v_add_f16_e32 v20, v46, v48
	v_add_f16_e32 v53, v52, v21
	v_sub_f16_e32 v28, v46, v48
	v_sub_f16_e32 v21, v52, v21
	v_mul_lo_u16 v8, 0xcd, v8
	v_mad_i32_i24 v1, 0xffffffee, v2, v13
	v_pack_b32_f16 v20, v20, v24
	v_pack_b32_f16 v3, v3, v19
	;; [unrolled: 1-line block ×3, first 2 shown]
	v_lshrrev_b16 v8, 11, v8
	v_pack_b32_f16 v19, v53, v27
	v_lshl_add_u32 v10, v6, 1, 0
	s_waitcnt lgkmcnt(0)
	s_barrier
	v_mul_lo_u16 v11, v8, 10
	buffer_gl0_inv
	ds_load_u16 v15, v1
	ds_load_u16 v32, v1 offset:2240
	ds_load_u16 v33, v1 offset:1920
	;; [unrolled: 1-line block ×9, first 2 shown]
	v_sub_nc_u16 v11, v2, v11
	ds_load_u16 v46, v1 offset:4480
	ds_load_u16 v47, v1 offset:4160
	;; [unrolled: 1-line block ×6, first 2 shown]
	ds_load_u16 v52, v10
	ds_load_u16 v55, v1 offset:6080
	ds_load_u16 v56, v1 offset:5760
	;; [unrolled: 1-line block ×3, first 2 shown]
	s_waitcnt lgkmcnt(0)
	v_and_b32_e32 v11, 0xff, v11
	s_barrier
	buffer_gl0_inv
	v_pack_b32_f16 v12, v39, v44
	v_pack_b32_f16 v17, v25, v38
	ds_store_2addr_b32 v34, v3, v20 offset1:1
	ds_store_2addr_b32 v16, v19, v14 offset1:1
	v_pack_b32_f16 v3, v7, v21
	v_add_nc_u32_e32 v7, 0xa0, v2
	v_pack_b32_f16 v18, v31, v40
	v_pack_b32_f16 v22, v54, v29
	;; [unrolled: 1-line block ×3, first 2 shown]
	v_mul_u32_u24_e32 v23, 9, v11
	ds_store_2addr_b32 v13, v17, v12 offset1:1
	ds_store_2addr_b32 v13, v22, v18 offset0:2 offset1:3
	ds_store_b32 v13, v24 offset:16
	ds_store_b32 v13, v3 offset:3216
	v_and_b32_e32 v3, 0xffff, v7
	s_waitcnt lgkmcnt(0)
	v_lshlrev_b32_e32 v14, 2, v23
	s_barrier
	buffer_gl0_inv
	v_mul_u32_u24_e32 v3, 0xcccd, v3
	v_and_b32_e32 v8, 0xffff, v8
	s_clause 0x2
	global_load_b128 v[16:19], v14, s[4:5]
	global_load_b128 v[20:23], v14, s[4:5] offset:16
	global_load_b32 v34, v14, s[4:5] offset:32
	v_lshrrev_b32_e32 v12, 19, v3
	v_mul_u32_u24_e32 v8, 0xc8, v8
	v_lshlrev_b32_e32 v11, 1, v11
	v_cmp_gt_u32_e64 s0, 0x64, v2
	s_delay_alu instid0(VALU_DEP_4) | instskip(SKIP_1) | instid1(VALU_DEP_4)
	v_mul_lo_u16 v3, v12, 10
	v_mul_u32_u24_e32 v12, 0xc8, v12
	v_add3_u32 v8, 0, v8, v11
	v_lshl_add_u32 v11, v2, 1, 0
	s_delay_alu instid0(VALU_DEP_4) | instskip(NEXT) | instid1(VALU_DEP_1)
	v_sub_nc_u16 v3, v7, v3
	v_and_b32_e32 v13, 0xffff, v3
	s_delay_alu instid0(VALU_DEP_1) | instskip(SKIP_1) | instid1(VALU_DEP_2)
	v_mul_u32_u24_e32 v3, 9, v13
	v_lshlrev_b32_e32 v13, 1, v13
	v_lshlrev_b32_e32 v3, 2, v3
	s_clause 0x2
	global_load_b128 v[24:27], v3, s[4:5]
	global_load_b128 v[28:31], v3, s[4:5] offset:16
	global_load_b32 v38, v3, s[4:5] offset:32
	ds_load_u16 v39, v1
	ds_load_u16 v40, v1 offset:640
	ds_load_u16 v41, v10
	ds_load_u16 v44, v1 offset:2240
	ds_load_u16 v53, v1 offset:1920
	;; [unrolled: 1-line block ×17, first 2 shown]
	s_waitcnt vmcnt(0) lgkmcnt(0)
	s_barrier
	buffer_gl0_inv
	v_add3_u32 v12, 0, v12, v13
	v_add_nc_u32_e32 v13, 0xffffff9c, v2
	v_add_nc_u32_e32 v3, 0x140, v2
	v_lshrrev_b32_e32 v68, 16, v16
	v_lshrrev_b32_e32 v72, 16, v17
	;; [unrolled: 1-line block ×4, first 2 shown]
	s_delay_alu instid0(VALU_DEP_4) | instskip(SKIP_2) | instid1(VALU_DEP_3)
	v_mul_f16_e32 v73, v40, v68
	v_mul_f16_e32 v68, v42, v68
	v_mul_f16_e32 v76, v58, v72
	v_fmac_f16_e32 v73, v42, v16
	v_mul_f16_e32 v42, v36, v72
	s_delay_alu instid0(VALU_DEP_4)
	v_fma_f16 v40, v40, v16, -v68
	v_mul_f16_e32 v68, v53, v74
	v_mul_f16_e32 v16, v33, v74
	v_fmac_f16_e32 v76, v36, v17
	v_fma_f16 v36, v58, v17, -v42
	v_mul_f16_e32 v42, v41, v75
	v_fmac_f16_e32 v68, v33, v18
	v_mul_f16_e32 v17, v52, v75
	v_fma_f16 v33, v53, v18, -v16
	v_lshrrev_b32_e32 v16, 16, v20
	v_lshrrev_b32_e32 v18, 16, v21
	v_fmac_f16_e32 v42, v52, v19
	v_fma_f16 v41, v41, v19, -v17
	v_lshrrev_b32_e32 v17, 16, v22
	v_mul_f16_e32 v52, v66, v16
	v_mul_f16_e32 v16, v50, v16
	;; [unrolled: 1-line block ×3, first 2 shown]
	v_lshrrev_b32_e32 v19, 16, v23
	v_mul_f16_e32 v18, v48, v18
	v_fmac_f16_e32 v52, v50, v20
	v_fma_f16 v50, v66, v20, -v16
	v_fmac_f16_e32 v53, v48, v21
	v_mul_f16_e32 v48, v62, v17
	v_fma_f16 v58, v64, v21, -v18
	v_mul_f16_e32 v16, v46, v17
	v_lshrrev_b32_e32 v17, 16, v34
	v_mul_f16_e32 v64, v60, v19
	v_mul_f16_e32 v18, v43, v19
	v_fmac_f16_e32 v48, v46, v22
	v_fma_f16 v46, v62, v22, -v16
	v_mul_f16_e32 v62, v70, v17
	v_fmac_f16_e32 v64, v43, v23
	v_mul_f16_e32 v16, v56, v17
	v_fma_f16 v23, v60, v23, -v18
	v_lshrrev_b32_e32 v17, 16, v24
	v_lshrrev_b32_e32 v18, 16, v25
	v_fmac_f16_e32 v62, v56, v34
	v_fma_f16 v34, v70, v34, -v16
	v_lshrrev_b32_e32 v19, 16, v26
	v_mul_f16_e32 v16, v59, v17
	v_mul_f16_e32 v17, v37, v17
	;; [unrolled: 1-line block ×4, first 2 shown]
	v_lshrrev_b32_e32 v20, 16, v27
	v_fmac_f16_e32 v16, v37, v24
	v_fma_f16 v17, v59, v24, -v17
	v_mul_f16_e32 v21, v44, v19
	v_fma_f16 v24, v54, v25, -v18
	v_mul_f16_e32 v18, v32, v19
	v_mul_f16_e32 v19, v51, v20
	v_fmac_f16_e32 v43, v35, v25
	v_mul_f16_e32 v25, v67, v20
	v_fmac_f16_e32 v21, v32, v26
	v_fma_f16 v20, v44, v26, -v18
	v_fma_f16 v26, v67, v27, -v19
	v_lshrrev_b32_e32 v19, 16, v30
	v_lshrrev_b32_e32 v35, 16, v28
	v_lshrrev_b32_e32 v18, 16, v29
	v_fmac_f16_e32 v25, v51, v27
	v_lshrrev_b32_e32 v27, 16, v31
	v_mul_f16_e32 v44, v61, v19
	v_mul_f16_e32 v19, v45, v19
	;; [unrolled: 1-line block ×6, first 2 shown]
	v_fmac_f16_e32 v44, v45, v30
	v_fma_f16 v19, v61, v30, -v19
	v_add_f16_e32 v30, v42, v53
	v_fmac_f16_e32 v22, v49, v28
	v_fma_f16 v18, v65, v28, -v32
	v_fmac_f16_e32 v35, v47, v29
	v_fma_f16 v28, v63, v29, -v37
	v_lshrrev_b32_e32 v29, 16, v38
	v_mul_f16_e32 v32, v71, v27
	v_mul_f16_e32 v27, v57, v27
	v_add_f16_e32 v45, v15, v76
	v_fma_f16 v30, -0.5, v30, v15
	v_sub_f16_e32 v47, v36, v23
	v_add_f16_e32 v56, v76, v64
	v_mul_f16_e32 v37, v69, v29
	v_fmac_f16_e32 v32, v57, v31
	v_fma_f16 v27, v71, v31, -v27
	v_add_f16_e32 v31, v45, v42
	v_fmamk_f16 v45, v47, 0xbb9c, v30
	v_sub_f16_e32 v49, v41, v58
	v_sub_f16_e32 v51, v76, v42
	;; [unrolled: 1-line block ×3, first 2 shown]
	v_mul_f16_e32 v29, v55, v29
	v_fmac_f16_e32 v15, -0.5, v56
	v_fmac_f16_e32 v30, 0x3b9c, v47
	v_add_f16_e32 v56, v39, v36
	v_fmac_f16_e32 v37, v55, v38
	v_fmac_f16_e32 v45, 0xb8b4, v49
	v_add_f16_e32 v51, v51, v54
	v_fma_f16 v29, v69, v38, -v29
	v_fmamk_f16 v38, v49, 0x3b9c, v15
	v_sub_f16_e32 v54, v42, v76
	v_sub_f16_e32 v55, v53, v64
	v_fmac_f16_e32 v30, 0x38b4, v49
	v_add_f16_e32 v57, v41, v58
	v_fmac_f16_e32 v15, 0xbb9c, v49
	v_add_f16_e32 v49, v56, v41
	v_fmac_f16_e32 v45, 0x34f2, v51
	v_fmac_f16_e32 v38, 0xb8b4, v47
	v_add_f16_e32 v54, v54, v55
	v_fma_f16 v55, -0.5, v57, v39
	v_sub_f16_e32 v56, v76, v64
	v_fmac_f16_e32 v30, 0x34f2, v51
	v_fmac_f16_e32 v15, 0x38b4, v47
	v_add_f16_e32 v47, v49, v58
	v_add_f16_e32 v51, v36, v23
	;; [unrolled: 1-line block ×3, first 2 shown]
	v_fmamk_f16 v49, v56, 0x3b9c, v55
	v_sub_f16_e32 v42, v42, v53
	v_sub_f16_e32 v53, v36, v41
	;; [unrolled: 1-line block ×3, first 2 shown]
	v_fmac_f16_e32 v39, -0.5, v51
	v_add_f16_e32 v47, v47, v23
	v_fmac_f16_e32 v55, 0xbb9c, v56
	v_sub_f16_e32 v36, v41, v36
	v_sub_f16_e32 v23, v58, v23
	v_add_f16_e32 v41, v73, v68
	v_fmac_f16_e32 v49, 0x38b4, v42
	v_add_f16_e32 v51, v53, v57
	v_fmamk_f16 v53, v42, 0xbb9c, v39
	v_fmac_f16_e32 v55, 0xb8b4, v42
	v_add_f16_e32 v23, v36, v23
	v_fmac_f16_e32 v39, 0x3b9c, v42
	v_add_f16_e32 v36, v41, v52
	v_add_f16_e32 v41, v52, v48
	v_fmac_f16_e32 v49, 0x34f2, v51
	v_fmac_f16_e32 v53, 0x38b4, v56
	;; [unrolled: 1-line block ×4, first 2 shown]
	v_add_f16_e32 v36, v36, v48
	v_fma_f16 v41, -0.5, v41, v73
	v_add_f16_e32 v42, v68, v62
	v_sub_f16_e32 v51, v33, v34
	v_fmac_f16_e32 v38, 0x34f2, v54
	v_fmac_f16_e32 v15, 0x34f2, v54
	;; [unrolled: 1-line block ×4, first 2 shown]
	v_add_f16_e32 v23, v36, v62
	v_sub_f16_e32 v36, v50, v46
	v_fmac_f16_e32 v73, -0.5, v42
	v_fmamk_f16 v42, v51, 0xbb9c, v41
	v_sub_f16_e32 v54, v68, v52
	v_sub_f16_e32 v56, v62, v48
	v_fmac_f16_e32 v41, 0x3b9c, v51
	v_fmamk_f16 v57, v36, 0x3b9c, v73
	v_sub_f16_e32 v58, v52, v68
	v_sub_f16_e32 v59, v48, v62
	v_fmac_f16_e32 v42, 0xb8b4, v36
	v_add_f16_e32 v54, v54, v56
	v_fmac_f16_e32 v41, 0x38b4, v36
	v_fmac_f16_e32 v73, 0xbb9c, v36
	v_add_f16_e32 v36, v50, v46
	v_fmac_f16_e32 v57, 0xb8b4, v51
	v_add_f16_e32 v56, v58, v59
	v_fmac_f16_e32 v42, 0x34f2, v54
	v_fmac_f16_e32 v41, 0x34f2, v54
	v_fmac_f16_e32 v73, 0x38b4, v51
	v_add_f16_e32 v51, v33, v34
	v_fma_f16 v36, -0.5, v36, v40
	v_sub_f16_e32 v54, v68, v62
	v_fmac_f16_e32 v57, 0x34f2, v56
	v_add_f16_e32 v58, v40, v33
	v_sub_f16_e32 v48, v52, v48
	v_fmac_f16_e32 v40, -0.5, v51
	v_fmac_f16_e32 v73, 0x34f2, v56
	v_fmamk_f16 v51, v54, 0x3b9c, v36
	v_sub_f16_e32 v52, v33, v50
	v_sub_f16_e32 v56, v34, v46
	v_fmamk_f16 v59, v48, 0xbb9c, v40
	v_sub_f16_e32 v33, v50, v33
	v_sub_f16_e32 v60, v46, v34
	v_fmac_f16_e32 v40, 0x3b9c, v48
	v_fmac_f16_e32 v51, 0x38b4, v48
	v_add_f16_e32 v52, v52, v56
	v_fmac_f16_e32 v36, 0xbb9c, v54
	v_fmac_f16_e32 v59, 0x38b4, v54
	v_add_f16_e32 v33, v33, v60
	v_fmac_f16_e32 v40, 0xb8b4, v54
	v_add_f16_e32 v50, v58, v50
	v_fmac_f16_e32 v51, 0x34f2, v52
	v_fmac_f16_e32 v36, 0xb8b4, v48
	;; [unrolled: 1-line block ×4, first 2 shown]
	v_add_f16_e32 v33, v50, v46
	v_mul_f16_e32 v46, 0xb8b4, v51
	v_fmac_f16_e32 v36, 0x34f2, v52
	v_add_f16_e32 v31, v31, v64
	v_mul_f16_e32 v48, 0xbb9c, v59
	v_add_f16_e32 v33, v33, v34
	v_fmac_f16_e32 v46, 0x3a79, v42
	v_mul_f16_e32 v34, 0xb8b4, v36
	v_mul_f16_e32 v59, 0x34f2, v59
	;; [unrolled: 1-line block ×3, first 2 shown]
	v_fmac_f16_e32 v48, 0x34f2, v57
	v_add_f16_e32 v52, v31, v23
	v_add_f16_e32 v54, v45, v46
	v_fmac_f16_e32 v34, 0xba79, v41
	v_mul_f16_e32 v51, 0x3a79, v51
	v_fmac_f16_e32 v59, 0x3b9c, v57
	v_sub_f16_e32 v23, v31, v23
	v_sub_f16_e32 v31, v45, v46
	v_add_f16_e32 v45, v25, v35
	v_fmac_f16_e32 v50, 0xb4f2, v73
	v_add_f16_e32 v56, v38, v48
	v_mul_f16_e32 v40, 0xb4f2, v40
	v_mul_f16_e32 v36, 0xba79, v36
	v_add_f16_e32 v60, v30, v34
	v_fmac_f16_e32 v51, 0x38b4, v42
	v_add_f16_e32 v57, v53, v59
	v_sub_f16_e32 v38, v38, v48
	v_sub_f16_e32 v30, v30, v34
	v_add_f16_e32 v34, v9, v43
	v_fma_f16 v45, -0.5, v45, v9
	v_sub_f16_e32 v46, v24, v27
	v_sub_f16_e32 v48, v53, v59
	v_add_f16_e32 v59, v43, v32
	v_add_f16_e32 v58, v15, v50
	v_fmac_f16_e32 v40, 0x3b9c, v73
	v_fmac_f16_e32 v36, 0x38b4, v41
	v_add_f16_e32 v41, v47, v33
	v_add_f16_e32 v42, v49, v51
	v_sub_f16_e32 v15, v15, v50
	v_sub_f16_e32 v33, v47, v33
	;; [unrolled: 1-line block ×3, first 2 shown]
	v_add_f16_e32 v34, v34, v25
	v_fmamk_f16 v49, v46, 0xbb9c, v45
	v_sub_f16_e32 v50, v26, v28
	v_sub_f16_e32 v51, v43, v25
	v_sub_f16_e32 v53, v32, v35
	v_fmac_f16_e32 v9, -0.5, v59
	v_fmac_f16_e32 v45, 0x3b9c, v46
	v_add_f16_e32 v59, v14, v24
	v_add_f16_e32 v61, v39, v40
	;; [unrolled: 1-line block ×3, first 2 shown]
	v_sub_f16_e32 v39, v39, v40
	v_add_f16_e32 v34, v34, v35
	v_fmac_f16_e32 v49, 0xb8b4, v50
	v_add_f16_e32 v40, v51, v53
	v_sub_f16_e32 v36, v55, v36
	v_fmamk_f16 v51, v50, 0x3b9c, v9
	v_sub_f16_e32 v53, v25, v43
	v_sub_f16_e32 v55, v35, v32
	v_fmac_f16_e32 v45, 0x38b4, v50
	v_add_f16_e32 v63, v26, v28
	v_fmac_f16_e32 v9, 0xbb9c, v50
	v_add_f16_e32 v50, v59, v26
	v_add_f16_e32 v34, v34, v32
	v_fmac_f16_e32 v49, 0x34f2, v40
	v_fmac_f16_e32 v51, 0xb8b4, v46
	v_add_f16_e32 v53, v53, v55
	v_fma_f16 v55, -0.5, v63, v14
	v_sub_f16_e32 v32, v43, v32
	v_fmac_f16_e32 v45, 0x34f2, v40
	v_fmac_f16_e32 v9, 0x38b4, v46
	v_add_f16_e32 v40, v50, v28
	v_add_f16_e32 v46, v24, v27
	v_fmamk_f16 v43, v32, 0x3b9c, v55
	v_sub_f16_e32 v25, v25, v35
	v_sub_f16_e32 v35, v24, v26
	;; [unrolled: 1-line block ×3, first 2 shown]
	v_fmac_f16_e32 v14, -0.5, v46
	v_add_f16_e32 v40, v40, v27
	v_fmac_f16_e32 v55, 0xbb9c, v32
	v_sub_f16_e32 v24, v26, v24
	v_sub_f16_e32 v26, v28, v27
	v_add_f16_e32 v27, v16, v21
	v_fmac_f16_e32 v43, 0x38b4, v25
	v_fmamk_f16 v46, v25, 0xbb9c, v14
	v_fmac_f16_e32 v55, 0xb8b4, v25
	v_fmac_f16_e32 v14, 0x3b9c, v25
	v_add_f16_e32 v25, v27, v22
	v_add_f16_e32 v24, v24, v26
	v_fmac_f16_e32 v46, 0x38b4, v32
	v_add_f16_e32 v26, v22, v44
	v_fmac_f16_e32 v14, 0xb8b4, v32
	v_add_f16_e32 v25, v25, v44
	v_add_f16_e32 v27, v21, v37
	;; [unrolled: 1-line block ×3, first 2 shown]
	v_fmac_f16_e32 v46, 0x34f2, v24
	v_fma_f16 v26, -0.5, v26, v16
	v_sub_f16_e32 v28, v20, v29
	v_fmac_f16_e32 v14, 0x34f2, v24
	v_add_f16_e32 v24, v25, v37
	v_sub_f16_e32 v25, v18, v19
	v_fmac_f16_e32 v16, -0.5, v27
	v_fmac_f16_e32 v43, 0x34f2, v35
	v_fmac_f16_e32 v55, 0x34f2, v35
	v_fmamk_f16 v27, v28, 0xbb9c, v26
	v_sub_f16_e32 v32, v21, v22
	v_sub_f16_e32 v35, v37, v44
	v_fmac_f16_e32 v26, 0x3b9c, v28
	v_fmamk_f16 v50, v25, 0x3b9c, v16
	v_fmac_f16_e32 v16, 0xbb9c, v25
	v_fmac_f16_e32 v51, 0x34f2, v53
	;; [unrolled: 1-line block ×3, first 2 shown]
	v_sub_f16_e32 v53, v22, v21
	v_sub_f16_e32 v59, v44, v37
	v_fmac_f16_e32 v27, 0xb8b4, v25
	v_add_f16_e32 v32, v32, v35
	v_fmac_f16_e32 v26, 0x38b4, v25
	v_fmac_f16_e32 v50, 0xb8b4, v28
	v_add_f16_e32 v25, v18, v19
	v_fmac_f16_e32 v16, 0x38b4, v28
	v_add_f16_e32 v28, v20, v29
	v_add_f16_e32 v35, v53, v59
	v_fmac_f16_e32 v27, 0x34f2, v32
	v_fmac_f16_e32 v26, 0x34f2, v32
	v_fma_f16 v25, -0.5, v25, v17
	v_add_f16_e32 v32, v17, v20
	v_sub_f16_e32 v22, v22, v44
	v_fmac_f16_e32 v17, -0.5, v28
	v_sub_f16_e32 v21, v21, v37
	v_fmac_f16_e32 v50, 0x34f2, v35
	v_fmac_f16_e32 v16, 0x34f2, v35
	v_sub_f16_e32 v35, v20, v18
	v_fmamk_f16 v44, v22, 0xbb9c, v17
	v_sub_f16_e32 v20, v18, v20
	v_sub_f16_e32 v53, v19, v29
	v_fmac_f16_e32 v17, 0x3b9c, v22
	v_fmamk_f16 v28, v21, 0x3b9c, v25
	v_sub_f16_e32 v37, v29, v19
	v_fmac_f16_e32 v25, 0xbb9c, v21
	v_add_f16_e32 v20, v20, v53
	v_fmac_f16_e32 v17, 0xb8b4, v21
	v_fmac_f16_e32 v28, 0x38b4, v22
	v_add_f16_e32 v35, v35, v37
	v_fmac_f16_e32 v44, 0x38b4, v21
	v_fmac_f16_e32 v25, 0xb8b4, v22
	;; [unrolled: 1-line block ×3, first 2 shown]
	v_add_f16_e32 v18, v32, v18
	v_fmac_f16_e32 v28, 0x34f2, v35
	v_fmac_f16_e32 v44, 0x34f2, v20
	;; [unrolled: 1-line block ×3, first 2 shown]
	v_mul_f16_e32 v21, 0xbb9c, v17
	v_add_f16_e32 v18, v18, v19
	v_mul_f16_e32 v19, 0xb8b4, v28
	v_mul_f16_e32 v20, 0xbb9c, v44
	;; [unrolled: 1-line block ×3, first 2 shown]
	v_fmac_f16_e32 v21, 0xb4f2, v16
	v_add_f16_e32 v18, v18, v29
	v_fmac_f16_e32 v19, 0x3a79, v27
	v_fmac_f16_e32 v20, 0x34f2, v50
	;; [unrolled: 1-line block ×3, first 2 shown]
	v_add_f16_e32 v37, v9, v21
	v_sub_f16_e32 v9, v9, v21
	v_add_f16_e32 v29, v34, v24
	v_add_f16_e32 v32, v49, v19
	;; [unrolled: 1-line block ×3, first 2 shown]
	v_mul_f16_e32 v28, 0x3a79, v28
	v_mul_f16_e32 v44, 0x34f2, v44
	;; [unrolled: 1-line block ×4, first 2 shown]
	v_add_f16_e32 v53, v45, v22
	v_sub_f16_e32 v24, v34, v24
	v_sub_f16_e32 v19, v49, v19
	;; [unrolled: 1-line block ×4, first 2 shown]
	ds_store_b16 v8, v52
	ds_store_b16 v8, v54 offset:20
	ds_store_b16 v8, v56 offset:40
	;; [unrolled: 1-line block ×9, first 2 shown]
	ds_store_b16 v12, v29
	ds_store_b16 v12, v32 offset:20
	ds_store_b16 v12, v35 offset:40
	;; [unrolled: 1-line block ×9, first 2 shown]
	v_lshrrev_b16 v9, 2, v7
	v_fmac_f16_e32 v28, 0x38b4, v27
	v_fmac_f16_e32 v44, 0x3b9c, v50
	;; [unrolled: 1-line block ×4, first 2 shown]
	v_and_b32_e32 v9, 0xffff, v9
	v_add_f16_e32 v16, v40, v18
	v_add_f16_e32 v26, v43, v28
	;; [unrolled: 1-line block ×5, first 2 shown]
	v_sub_f16_e32 v18, v40, v18
	v_sub_f16_e32 v22, v43, v28
	;; [unrolled: 1-line block ×5, first 2 shown]
	s_waitcnt lgkmcnt(0)
	s_barrier
	buffer_gl0_inv
	ds_load_u16 v29, v1
	ds_load_u16 v30, v1 offset:320
	ds_load_u16 v31, v1 offset:640
	;; [unrolled: 1-line block ×19, first 2 shown]
	s_waitcnt lgkmcnt(0)
	s_barrier
	buffer_gl0_inv
	ds_store_b16 v8, v41
	ds_store_b16 v8, v42 offset:20
	ds_store_b16 v8, v57 offset:40
	;; [unrolled: 1-line block ×9, first 2 shown]
	v_cndmask_b32_e64 v33, v13, v2, s0
	v_mul_u32_u24_e32 v8, 0x147b, v9
	ds_store_b16 v12, v16
	ds_store_b16 v12, v26 offset:20
	ds_store_b16 v12, v27 offset:40
	;; [unrolled: 1-line block ×7, first 2 shown]
	v_mov_b32_e32 v9, 0
	v_lshrrev_b16 v15, 2, v3
	ds_store_b16 v12, v14 offset:160
	ds_store_b16 v12, v17 offset:180
	v_lshrrev_b32_e32 v27, 17, v8
	v_mul_i32_i24_e32 v8, 3, v33
	v_add_nc_u16 v18, v2, 0x1e0
	v_and_b32_e32 v15, 0xffff, v15
	s_waitcnt lgkmcnt(0)
	v_mul_lo_u16 v14, 0x64, v27
	v_lshlrev_b64 v[12:13], 2, v[8:9]
	s_barrier
	v_mul_u32_u24_e32 v15, 0x147b, v15
	buffer_gl0_inv
	v_sub_nc_u16 v14, v7, v14
	v_lshrrev_b16 v16, 2, v18
	v_add_co_u32 v7, s0, s4, v12
	s_delay_alu instid0(VALU_DEP_1) | instskip(NEXT) | instid1(VALU_DEP_4)
	v_add_co_ci_u32_e64 v8, s0, s5, v13, s0
	v_and_b32_e32 v28, 0xffff, v14
	v_add_nc_u16 v21, v2, 0x280
	v_cmp_lt_u32_e64 s0, 0x63, v2
	global_load_b96 v[12:14], v[7:8], off offset:360
	v_lshrrev_b32_e32 v7, 17, v15
	v_mul_u32_u24_e32 v8, 3, v28
	v_and_b32_e32 v15, 0xffff, v16
	v_lshlrev_b32_e32 v33, 1, v33
	v_mul_u32_u24_e32 v27, 0x320, v27
	v_mul_lo_u16 v16, 0x64, v7
	v_lshlrev_b32_e32 v8, 2, v8
	v_mul_u32_u24_e32 v19, 0x147b, v15
	v_lshlrev_b32_e32 v28, 1, v28
	v_mul_u32_u24_e32 v7, 0x320, v7
	v_sub_nc_u16 v20, v3, v16
	global_load_b96 v[15:17], v8, s[4:5] offset:360
	v_lshrrev_b32_e32 v8, 17, v19
	v_lshrrev_b16 v19, 2, v21
	v_add3_u32 v27, 0, v27, v28
	v_and_b32_e32 v36, 0xffff, v20
	s_delay_alu instid0(VALU_DEP_4) | instskip(NEXT) | instid1(VALU_DEP_4)
	v_mul_lo_u16 v20, 0x64, v8
	v_and_b32_e32 v19, 0xffff, v19
	v_mul_u32_u24_e32 v8, 0x320, v8
	s_delay_alu instid0(VALU_DEP_4) | instskip(SKIP_2) | instid1(VALU_DEP_3)
	v_mul_u32_u24_e32 v22, 3, v36
	v_lshlrev_b32_e32 v28, 1, v36
	v_sub_nc_u16 v18, v18, v20
	v_lshlrev_b32_e32 v20, 2, v22
	v_mul_u32_u24_e32 v22, 0x147b, v19
	s_delay_alu instid0(VALU_DEP_3) | instskip(SKIP_4) | instid1(VALU_DEP_2)
	v_and_b32_e32 v39, 0xffff, v18
	v_add3_u32 v7, 0, v7, v28
	global_load_b96 v[18:20], v20, s[4:5] offset:360
	v_lshrrev_b32_e32 v41, 17, v22
	v_mul_u32_u24_e32 v22, 3, v39
	v_mul_lo_u16 v23, 0x64, v41
	s_delay_alu instid0(VALU_DEP_2) | instskip(NEXT) | instid1(VALU_DEP_2)
	v_lshlrev_b32_e32 v22, 2, v22
	v_sub_nc_u16 v24, v21, v23
	global_load_b96 v[21:23], v22, s[4:5] offset:360
	v_and_b32_e32 v42, 0xffff, v24
	s_delay_alu instid0(VALU_DEP_1) | instskip(NEXT) | instid1(VALU_DEP_1)
	v_mul_u32_u24_e32 v24, 3, v42
	v_lshlrev_b32_e32 v24, 2, v24
	global_load_b96 v[24:26], v24, s[4:5] offset:360
	ds_load_u16 v47, v11 offset:1600
	ds_load_u16 v48, v1 offset:3200
	ds_load_u16 v50, v1
	ds_load_u16 v57, v1 offset:320
	ds_load_u16 v58, v1 offset:640
	;; [unrolled: 1-line block ×17, first 2 shown]
	s_waitcnt vmcnt(0) lgkmcnt(0)
	s_barrier
	buffer_gl0_inv
	v_lshrrev_b32_e32 v69, 16, v12
	v_lshrrev_b32_e32 v73, 16, v13
	;; [unrolled: 1-line block ×3, first 2 shown]
	s_delay_alu instid0(VALU_DEP_3) | instskip(SKIP_1) | instid1(VALU_DEP_4)
	v_mul_f16_e32 v75, v47, v69
	v_mul_f16_e32 v69, v54, v69
	v_mul_f16_e32 v77, v48, v73
	s_delay_alu instid0(VALU_DEP_3) | instskip(SKIP_1) | instid1(VALU_DEP_4)
	v_fmac_f16_e32 v75, v54, v12
	v_mul_f16_e32 v54, v35, v73
	v_fma_f16 v12, v47, v12, -v69
	s_delay_alu instid0(VALU_DEP_4)
	v_fmac_f16_e32 v77, v35, v13
	v_mul_f16_e32 v35, v59, v78
	v_lshrrev_b32_e32 v47, 16, v15
	v_fma_f16 v13, v48, v13, -v54
	v_mul_f16_e32 v48, v52, v78
	v_lshrrev_b32_e32 v54, 16, v16
	v_fmac_f16_e32 v35, v52, v14
	v_mul_f16_e32 v52, v70, v47
	v_mul_f16_e32 v47, v49, v47
	v_fma_f16 v14, v59, v14, -v48
	v_mul_f16_e32 v48, v62, v54
	v_lshrrev_b32_e32 v59, 16, v17
	v_fmac_f16_e32 v52, v49, v15
	v_fma_f16 v15, v70, v15, -v47
	v_mul_f16_e32 v47, v37, v54
	v_fmac_f16_e32 v48, v37, v16
	v_mul_f16_e32 v37, v60, v59
	v_mul_f16_e32 v54, v32, v59
	v_lshrrev_b32_e32 v49, 16, v18
	v_fma_f16 v16, v62, v16, -v47
	v_lshrrev_b32_e32 v47, 16, v19
	v_fmac_f16_e32 v37, v32, v17
	v_fma_f16 v17, v60, v17, -v54
	v_mul_f16_e32 v32, v66, v49
	v_lshrrev_b32_e32 v59, 16, v20
	v_mul_f16_e32 v54, v63, v47
	v_mul_f16_e32 v49, v44, v49
	v_sub_f16_e32 v35, v75, v35
	v_fmac_f16_e32 v32, v44, v18
	v_mul_f16_e32 v44, v38, v47
	v_fmac_f16_e32 v54, v38, v19
	v_mul_f16_e32 v38, v61, v59
	v_lshrrev_b32_e32 v47, 16, v21
	v_fma_f16 v18, v66, v18, -v49
	v_fma_f16 v19, v63, v19, -v44
	v_mul_f16_e32 v44, v34, v59
	v_lshrrev_b32_e32 v49, 16, v22
	v_fmac_f16_e32 v38, v34, v20
	v_mul_f16_e32 v34, v67, v47
	v_mul_f16_e32 v47, v45, v47
	v_fma_f16 v20, v61, v20, -v44
	v_mul_f16_e32 v44, v64, v49
	v_lshrrev_b32_e32 v59, 16, v23
	v_fmac_f16_e32 v34, v45, v21
	v_mul_f16_e32 v45, v40, v49
	v_fma_f16 v21, v67, v21, -v47
	v_fmac_f16_e32 v44, v40, v22
	v_mul_f16_e32 v40, v65, v59
	v_mul_f16_e32 v47, v43, v59
	v_lshrrev_b32_e32 v49, 16, v24
	v_fma_f16 v22, v64, v22, -v45
	v_lshrrev_b32_e32 v45, 16, v25
	v_fmac_f16_e32 v40, v43, v23
	v_fma_f16 v23, v65, v23, -v47
	v_mul_f16_e32 v43, v68, v49
	v_mul_f16_e32 v47, v46, v49
	;; [unrolled: 1-line block ×4, first 2 shown]
	v_lshrrev_b32_e32 v59, 16, v26
	v_fmac_f16_e32 v43, v46, v24
	v_fma_f16 v24, v68, v24, -v47
	v_fmac_f16_e32 v49, v53, v25
	v_fma_f16 v25, v72, v25, -v45
	v_sub_f16_e32 v45, v29, v77
	v_mul_f16_e32 v46, v76, v59
	v_mul_f16_e32 v47, v56, v59
	v_sub_f16_e32 v13, v50, v13
	v_fma_f16 v53, v75, 2.0, -v35
	v_fma_f16 v29, v29, 2.0, -v45
	v_sub_f16_e32 v48, v30, v48
	v_sub_f16_e32 v37, v52, v37
	;; [unrolled: 1-line block ×3, first 2 shown]
	v_fmac_f16_e32 v46, v56, v26
	v_fma_f16 v26, v76, v26, -v47
	v_fma_f16 v47, v50, 2.0, -v13
	v_sub_f16_e32 v50, v29, v53
	v_fma_f16 v30, v30, 2.0, -v48
	v_fma_f16 v52, v52, 2.0, -v37
	v_cndmask_b32_e64 v59, 0, 0x320, s0
	v_fma_f16 v12, v12, 2.0, -v14
	v_sub_f16_e32 v17, v15, v17
	v_add_f16_e32 v14, v45, v14
	v_sub_f16_e32 v54, v31, v54
	v_sub_f16_e32 v38, v32, v38
	;; [unrolled: 1-line block ×5, first 2 shown]
	v_fma_f16 v29, v29, 2.0, -v50
	v_sub_f16_e32 v52, v30, v52
	v_sub_f16_e32 v49, v51, v49
	;; [unrolled: 1-line block ×3, first 2 shown]
	v_add3_u32 v33, 0, v59, v33
	v_fma_f16 v15, v15, 2.0, -v17
	v_fma_f16 v45, v45, 2.0, -v14
	v_add_f16_e32 v17, v48, v17
	v_sub_f16_e32 v19, v58, v19
	v_sub_f16_e32 v20, v18, v20
	v_fma_f16 v31, v31, 2.0, -v54
	v_fma_f16 v32, v32, 2.0, -v38
	;; [unrolled: 1-line block ×4, first 2 shown]
	v_sub_f16_e32 v23, v21, v23
	v_fma_f16 v53, v57, 2.0, -v16
	v_fma_f16 v30, v30, 2.0, -v52
	v_sub_f16_e32 v26, v24, v26
	v_fma_f16 v51, v51, 2.0, -v49
	v_fma_f16 v43, v43, 2.0, -v46
	ds_store_b16 v33, v29
	ds_store_b16 v33, v45 offset:200
	ds_store_b16 v33, v50 offset:400
	;; [unrolled: 1-line block ×3, first 2 shown]
	v_lshlrev_b32_e32 v14, 1, v39
	v_sub_f16_e32 v12, v47, v12
	v_fma_f16 v56, v58, 2.0, -v19
	v_fma_f16 v18, v18, 2.0, -v20
	;; [unrolled: 1-line block ×3, first 2 shown]
	v_sub_f16_e32 v32, v31, v32
	v_sub_f16_e32 v22, v74, v22
	;; [unrolled: 1-line block ×5, first 2 shown]
	v_add_f16_e32 v20, v54, v20
	v_fma_f16 v21, v21, 2.0, -v23
	v_add_f16_e32 v23, v44, v23
	v_sub_f16_e32 v15, v53, v15
	v_fma_f16 v24, v24, 2.0, -v26
	v_sub_f16_e32 v43, v51, v43
	v_add_f16_e32 v26, v49, v26
	ds_store_b16 v27, v30
	ds_store_b16 v27, v48 offset:200
	ds_store_b16 v27, v52 offset:400
	;; [unrolled: 1-line block ×3, first 2 shown]
	v_add3_u32 v8, 0, v8, v14
	v_mul_u32_u24_e32 v14, 0x320, v41
	v_lshlrev_b32_e32 v17, 1, v42
	v_fma_f16 v47, v47, 2.0, -v12
	v_sub_f16_e32 v37, v16, v37
	v_sub_f16_e32 v18, v56, v18
	v_fma_f16 v31, v31, 2.0, -v32
	v_sub_f16_e32 v38, v19, v38
	v_fma_f16 v57, v74, 2.0, -v22
	v_fma_f16 v55, v55, 2.0, -v34
	;; [unrolled: 1-line block ×9, first 2 shown]
	v_add3_u32 v14, 0, v14, v17
	v_fma_f16 v16, v16, 2.0, -v37
	v_fma_f16 v56, v56, 2.0, -v18
	;; [unrolled: 1-line block ×3, first 2 shown]
	v_sub_f16_e32 v21, v57, v21
	v_sub_f16_e32 v24, v58, v24
	ds_store_b16 v7, v31
	ds_store_b16 v7, v54 offset:200
	ds_store_b16 v7, v32 offset:400
	ds_store_b16 v7, v20 offset:600
	ds_store_b16 v8, v55
	ds_store_b16 v8, v44 offset:200
	ds_store_b16 v8, v34 offset:400
	ds_store_b16 v8, v23 offset:600
	;; [unrolled: 4-line block ×3, first 2 shown]
	s_waitcnt lgkmcnt(0)
	s_barrier
	buffer_gl0_inv
	ds_load_u16 v28, v1
	ds_load_u16 v29, v1 offset:320
	ds_load_u16 v30, v1 offset:640
	;; [unrolled: 1-line block ×19, first 2 shown]
	s_waitcnt lgkmcnt(0)
	s_barrier
	buffer_gl0_inv
	ds_store_b16 v33, v47
	ds_store_b16 v33, v13 offset:200
	ds_store_b16 v33, v12 offset:400
	ds_store_b16 v33, v35 offset:600
	ds_store_b16 v27, v53
	ds_store_b16 v27, v16 offset:200
	ds_store_b16 v27, v15 offset:400
	ds_store_b16 v27, v37 offset:600
	;; [unrolled: 4-line block ×3, first 2 shown]
	v_mul_u32_u24_e32 v7, 3, v2
	v_sub_f16_e32 v40, v22, v40
	v_sub_f16_e32 v46, v25, v46
	v_fma_f16 v57, v57, 2.0, -v21
	v_fma_f16 v58, v58, 2.0, -v24
	v_lshlrev_b32_e32 v26, 2, v7
	v_fma_f16 v22, v22, 2.0, -v40
	v_fma_f16 v25, v25, 2.0, -v46
	v_add_nc_u32_e32 v7, 0xffffffb0, v2
	v_cmp_gt_u32_e64 s0, 0x50, v2
	ds_store_b16 v8, v57
	ds_store_b16 v8, v22 offset:200
	ds_store_b16 v8, v21 offset:400
	;; [unrolled: 1-line block ×3, first 2 shown]
	ds_store_b16 v14, v58
	ds_store_b16 v14, v25 offset:200
	ds_store_b16 v14, v24 offset:400
	;; [unrolled: 1-line block ×3, first 2 shown]
	s_waitcnt lgkmcnt(0)
	s_barrier
	buffer_gl0_inv
	global_load_b96 v[12:14], v26, s[4:5] offset:1560
	v_cndmask_b32_e64 v3, v7, v3, s0
	global_load_b96 v[15:17], v26, s[4:5] offset:3480
	v_mul_i32_i24_e32 v8, 3, v3
	v_lshlrev_b32_e32 v3, 1, v3
	s_delay_alu instid0(VALU_DEP_2) | instskip(NEXT) | instid1(VALU_DEP_1)
	v_lshlrev_b64 v[7:8], 2, v[8:9]
	v_add_co_u32 v7, s0, s4, v7
	s_delay_alu instid0(VALU_DEP_1)
	v_add_co_ci_u32_e64 v8, s0, s5, v8, s0
	v_cmp_lt_u32_e64 s0, 0x4f, v2
	global_load_b96 v[18:20], v[7:8], off offset:1560
	v_add_nc_u32_e32 v7, 0x3c0, v26
	global_load_b96 v[21:23], v7, s[4:5] offset:1560
	v_add_nc_u32_e32 v7, 0xb40, v26
	global_load_b96 v[24:26], v7, s[4:5] offset:1560
	ds_load_u16 v7, v11 offset:1600
	ds_load_u16 v8, v1 offset:3200
	ds_load_u16 v27, v1
	ds_load_u16 v33, v1 offset:320
	ds_load_u16 v35, v1 offset:640
	;; [unrolled: 1-line block ×17, first 2 shown]
	s_waitcnt vmcnt(0) lgkmcnt(0)
	s_barrier
	buffer_gl0_inv
	v_lshrrev_b32_e32 v60, 16, v12
	v_lshrrev_b32_e32 v64, 16, v13
	;; [unrolled: 1-line block ×3, first 2 shown]
	s_delay_alu instid0(VALU_DEP_3) | instskip(SKIP_1) | instid1(VALU_DEP_4)
	v_mul_f16_e32 v66, v7, v60
	v_mul_f16_e32 v60, v52, v60
	;; [unrolled: 1-line block ×3, first 2 shown]
	s_delay_alu instid0(VALU_DEP_3) | instskip(SKIP_1) | instid1(VALU_DEP_4)
	v_fmac_f16_e32 v66, v52, v12
	v_mul_f16_e32 v52, v34, v64
	v_fma_f16 v7, v7, v12, -v60
	s_delay_alu instid0(VALU_DEP_4)
	v_fmac_f16_e32 v68, v34, v13
	v_mul_f16_e32 v12, v37, v69
	v_lshrrev_b32_e32 v34, 16, v15
	v_fma_f16 v8, v8, v13, -v52
	v_mul_f16_e32 v13, v50, v69
	v_lshrrev_b32_e32 v52, 16, v16
	v_fmac_f16_e32 v12, v50, v14
	v_mul_f16_e32 v50, v61, v34
	v_mul_f16_e32 v34, v48, v34
	v_fma_f16 v13, v37, v14, -v13
	v_mul_f16_e32 v14, v46, v52
	v_lshrrev_b32_e32 v37, 16, v17
	v_fmac_f16_e32 v50, v48, v15
	v_fma_f16 v15, v61, v15, -v34
	v_mul_f16_e32 v34, v36, v52
	v_fmac_f16_e32 v14, v36, v16
	v_mul_f16_e32 v36, v38, v37
	v_lshrrev_b32_e32 v48, 16, v18
	v_mul_f16_e32 v37, v31, v37
	v_fma_f16 v16, v46, v16, -v34
	v_lshrrev_b32_e32 v34, 16, v19
	v_fmac_f16_e32 v36, v31, v17
	v_mul_f16_e32 v31, v57, v48
	v_fma_f16 v17, v38, v17, -v37
	v_mul_f16_e32 v37, v43, v48
	v_mul_f16_e32 v38, v47, v34
	v_lshrrev_b32_e32 v46, 16, v20
	v_fmac_f16_e32 v31, v43, v18
	v_mul_f16_e32 v34, v39, v34
	v_fma_f16 v18, v57, v18, -v37
	v_fmac_f16_e32 v38, v39, v19
	v_mul_f16_e32 v37, v40, v46
	v_lshrrev_b32_e32 v39, 16, v21
	v_fma_f16 v19, v47, v19, -v34
	v_mul_f16_e32 v34, v32, v46
	v_lshrrev_b32_e32 v43, 16, v22
	v_fmac_f16_e32 v37, v32, v20
	v_mul_f16_e32 v32, v58, v39
	v_mul_f16_e32 v39, v44, v39
	v_fma_f16 v20, v40, v20, -v34
	v_mul_f16_e32 v34, v53, v43
	v_lshrrev_b32_e32 v40, 16, v23
	v_fmac_f16_e32 v32, v44, v21
	v_fma_f16 v21, v58, v21, -v39
	v_mul_f16_e32 v39, v41, v43
	v_fmac_f16_e32 v34, v41, v22
	v_mul_f16_e32 v41, v56, v40
	v_mul_f16_e32 v40, v42, v40
	v_lshrrev_b32_e32 v43, 16, v24
	v_fma_f16 v22, v53, v22, -v39
	v_lshrrev_b32_e32 v39, 16, v25
	v_fmac_f16_e32 v41, v42, v23
	v_fma_f16 v23, v56, v23, -v40
	v_mul_f16_e32 v40, v59, v43
	v_mul_f16_e32 v42, v45, v43
	;; [unrolled: 1-line block ×4, first 2 shown]
	v_lshrrev_b32_e32 v44, 16, v26
	v_sub_f16_e32 v12, v66, v12
	v_fmac_f16_e32 v40, v45, v24
	v_fmac_f16_e32 v43, v51, v25
	v_fma_f16 v25, v63, v25, -v39
	v_sub_f16_e32 v39, v28, v68
	v_fma_f16 v24, v59, v24, -v42
	v_mul_f16_e32 v42, v67, v44
	v_mul_f16_e32 v44, v55, v44
	v_sub_f16_e32 v8, v27, v8
	v_fma_f16 v28, v28, 2.0, -v39
	v_sub_f16_e32 v13, v7, v13
	v_fma_f16 v45, v66, 2.0, -v12
	v_sub_f16_e32 v14, v29, v14
	v_sub_f16_e32 v36, v50, v36
	v_fmac_f16_e32 v42, v55, v26
	v_fma_f16 v26, v67, v26, -v44
	v_fma_f16 v27, v27, 2.0, -v8
	v_fma_f16 v7, v7, 2.0, -v13
	v_sub_f16_e32 v44, v28, v45
	v_sub_f16_e32 v16, v33, v16
	v_fma_f16 v29, v29, 2.0, -v14
	v_fma_f16 v45, v50, 2.0, -v36
	v_sub_f16_e32 v19, v35, v19
	v_sub_f16_e32 v20, v18, v20
	;; [unrolled: 1-line block ×7, first 2 shown]
	v_fma_f16 v35, v35, 2.0, -v19
	v_fma_f16 v18, v18, 2.0, -v20
	;; [unrolled: 1-line block ×4, first 2 shown]
	v_add_f16_e32 v13, v39, v13
	v_fma_f16 v47, v27, 2.0, -v7
	v_fma_f16 v27, v29, 2.0, -v12
	v_sub_f16_e32 v29, v30, v38
	v_fma_f16 v38, v16, 2.0, -v36
	v_sub_f16_e32 v16, v54, v34
	v_sub_f16_e32 v34, v35, v18
	;; [unrolled: 1-line block ×4, first 2 shown]
	v_fma_f16 v15, v39, 2.0, -v13
	v_sub_f16_e32 v37, v31, v37
	v_sub_f16_e32 v22, v65, v22
	v_fma_f16 v39, v54, 2.0, -v16
	v_sub_f16_e32 v23, v21, v23
	v_fma_f16 v32, v32, 2.0, -v18
	v_fma_f16 v31, v31, 2.0, -v37
	v_sub_f16_e32 v37, v19, v37
	v_fma_f16 v41, v65, 2.0, -v22
	v_fma_f16 v21, v21, 2.0, -v23
	v_sub_f16_e32 v32, v39, v32
	v_sub_f16_e32 v25, v62, v25
	v_fma_f16 v48, v19, 2.0, -v37
	v_sub_f16_e32 v26, v24, v26
	v_sub_f16_e32 v50, v41, v21
	;; [unrolled: 3-line block ×3, first 2 shown]
	v_fma_f16 v43, v62, 2.0, -v25
	v_fma_f16 v24, v24, 2.0, -v26
	;; [unrolled: 1-line block ×5, first 2 shown]
	v_sub_f16_e32 v49, v22, v18
	v_sub_f16_e32 v39, v25, v39
	v_add_f16_e32 v17, v14, v17
	v_sub_f16_e32 v31, v30, v31
	v_sub_f16_e32 v18, v42, v40
	;; [unrolled: 1-line block ×3, first 2 shown]
	v_add_f16_e32 v20, v29, v20
	v_add_f16_e32 v23, v16, v23
	;; [unrolled: 1-line block ×3, first 2 shown]
	v_fma_f16 v28, v28, 2.0, -v44
	v_fma_f16 v51, v22, 2.0, -v49
	;; [unrolled: 1-line block ×5, first 2 shown]
	v_cndmask_b32_e64 v25, 0, 0xc80, s0
	v_fma_f16 v14, v14, 2.0, -v17
	v_fma_f16 v30, v30, 2.0, -v31
	;; [unrolled: 1-line block ×5, first 2 shown]
	ds_store_b16 v1, v28
	ds_store_b16 v1, v15 offset:800
	ds_store_b16 v1, v27 offset:320
	v_add3_u32 v3, 0, v25, v3
	ds_store_b16 v1, v44 offset:1600
	ds_store_b16 v1, v14 offset:1120
	;; [unrolled: 1-line block ×5, first 2 shown]
	ds_store_b16 v3, v30
	ds_store_b16 v3, v29 offset:800
	ds_store_b16 v3, v31 offset:1600
	;; [unrolled: 1-line block ×11, first 2 shown]
	s_waitcnt lgkmcnt(0)
	s_barrier
	buffer_gl0_inv
	ds_load_u16 v20, v1 offset:3520
	ds_load_u16 v23, v1 offset:3840
	ds_load_u16 v12, v1
	ds_load_u16 v13, v1 offset:320
	ds_load_u16 v14, v1 offset:640
	;; [unrolled: 1-line block ×15, first 2 shown]
	ds_load_u16 v21, v10
	ds_load_u16 v31, v1 offset:6080
	v_fma_f16 v8, v8, 2.0, -v46
	v_fma_f16 v33, v33, 2.0, -v45
	;; [unrolled: 1-line block ×4, first 2 shown]
	s_waitcnt lgkmcnt(0)
	s_barrier
	buffer_gl0_inv
	ds_store_b16 v1, v47
	ds_store_b16 v1, v8 offset:800
	ds_store_b16 v1, v33 offset:320
	;; [unrolled: 1-line block ×7, first 2 shown]
	ds_store_b16 v3, v35
	ds_store_b16 v3, v48 offset:800
	ds_store_b16 v3, v34 offset:1600
	;; [unrolled: 1-line block ×11, first 2 shown]
	s_waitcnt lgkmcnt(0)
	s_barrier
	buffer_gl0_inv
	s_and_saveexec_b32 s0, vcc_lo
	s_cbranch_execz .LBB0_15
; %bb.14:
	v_dual_mov_b32 v7, v9 :: v_dual_add_nc_u32 v8, 0x5a0, v2
	v_dual_mov_b32 v35, v9 :: v_dual_add_nc_u32 v34, 0x460, v2
	s_delay_alu instid0(VALU_DEP_2) | instskip(NEXT) | instid1(VALU_DEP_3)
	v_lshlrev_b64 v[32:33], 2, v[8:9]
	v_lshlrev_b64 v[6:7], 2, v[6:7]
	s_delay_alu instid0(VALU_DEP_2) | instskip(NEXT) | instid1(VALU_DEP_3)
	v_add_co_u32 v3, vcc_lo, s4, v32
	v_add_co_ci_u32_e32 v33, vcc_lo, s5, v33, vcc_lo
	s_delay_alu instid0(VALU_DEP_2) | instskip(NEXT) | instid1(VALU_DEP_2)
	v_add_co_u32 v32, vcc_lo, 0x1000, v3
	v_add_co_ci_u32_e32 v33, vcc_lo, 0, v33, vcc_lo
	v_add_co_u32 v36, vcc_lo, s4, v6
	v_add_co_ci_u32_e32 v37, vcc_lo, s5, v7, vcc_lo
	v_mov_b32_e32 v3, v9
	v_lshlrev_b64 v[6:7], 2, v[34:35]
	s_delay_alu instid0(VALU_DEP_4) | instskip(NEXT) | instid1(VALU_DEP_4)
	v_add_co_u32 v34, vcc_lo, 0x1000, v36
	v_add_co_ci_u32_e32 v35, vcc_lo, 0, v37, vcc_lo
	s_delay_alu instid0(VALU_DEP_4) | instskip(NEXT) | instid1(VALU_DEP_4)
	v_lshlrev_b64 v[36:37], 2, v[2:3]
	v_add_co_u32 v3, vcc_lo, s4, v6
	v_add_co_ci_u32_e32 v7, vcc_lo, s5, v7, vcc_lo
	s_delay_alu instid0(VALU_DEP_3) | instskip(NEXT) | instid1(VALU_DEP_4)
	v_add_co_u32 v40, vcc_lo, s4, v36
	v_add_co_ci_u32_e32 v41, vcc_lo, s5, v37, vcc_lo
	s_delay_alu instid0(VALU_DEP_4) | instskip(NEXT) | instid1(VALU_DEP_4)
	v_add_co_u32 v6, vcc_lo, 0x1000, v3
	v_add_co_ci_u32_e32 v7, vcc_lo, 0, v7, vcc_lo
	s_delay_alu instid0(VALU_DEP_4) | instskip(NEXT) | instid1(VALU_DEP_4)
	v_add_co_u32 v38, vcc_lo, 0x1000, v40
	v_add_co_ci_u32_e32 v39, vcc_lo, 0, v41, vcc_lo
	v_add_co_u32 v40, vcc_lo, 0x2000, v40
	v_add_co_ci_u32_e32 v41, vcc_lo, 0, v41, vcc_lo
	s_clause 0x9
	global_load_b32 v42, v[32:33], off offset:2264
	global_load_b32 v43, v[34:35], off offset:2264
	;; [unrolled: 1-line block ×10, first 2 shown]
	v_add_co_u32 v38, vcc_lo, s8, v4
	v_add_co_ci_u32_e32 v39, vcc_lo, s9, v5, vcc_lo
	v_add_nc_u32_e32 v3, 0x320, v2
	v_dual_mov_b32 v4, v9 :: v_dual_add_nc_u32 v5, 0x3c0, v2
	ds_load_u16 v52, v10
	ds_load_u16 v53, v1 offset:6080
	ds_load_u16 v54, v1 offset:5760
	;; [unrolled: 1-line block ×18, first 2 shown]
	ds_load_u16 v71, v1
	v_mov_b32_e32 v1, v9
	v_mov_b32_e32 v2, v9
	v_mul_hi_u32 v3, 0x51eb851f, v3
	v_mul_hi_u32 v7, 0x51eb851f, v5
	;; [unrolled: 1-line block ×3, first 2 shown]
	v_lshlrev_b64 v[0:1], 2, v[0:1]
	v_add_co_u32 v5, vcc_lo, v38, v36
	v_add_co_ci_u32_e32 v6, vcc_lo, v39, v37, vcc_lo
	v_lshrrev_b32_e32 v3, 9, v3
	s_delay_alu instid0(VALU_DEP_4) | instskip(SKIP_4) | instid1(VALU_DEP_4)
	v_add_co_u32 v10, vcc_lo, v38, v0
	v_lshrrev_b32_e32 v0, 9, v7
	v_lshrrev_b32_e32 v7, 9, v32
	v_add_co_ci_u32_e32 v11, vcc_lo, v39, v1, vcc_lo
	v_mul_u32_u24_e32 v1, 0x640, v3
	v_mul_u32_u24_e32 v3, 0x640, v0
	s_delay_alu instid0(VALU_DEP_4) | instskip(SKIP_1) | instid1(VALU_DEP_4)
	v_mad_u32_u24 v8, 0x640, v7, v8
	v_add_co_u32 v32, vcc_lo, 0x1000, v5
	v_lshlrev_b64 v[0:1], 2, v[1:2]
	s_delay_alu instid0(VALU_DEP_4) | instskip(NEXT) | instid1(VALU_DEP_4)
	v_lshlrev_b64 v[2:3], 2, v[3:4]
	v_lshlrev_b64 v[7:8], 2, v[8:9]
	v_add_co_ci_u32_e32 v33, vcc_lo, 0, v6, vcc_lo
	v_add_co_u32 v34, vcc_lo, 0x2000, v5
	v_add_co_ci_u32_e32 v35, vcc_lo, 0, v6, vcc_lo
	v_add_co_u32 v0, vcc_lo, v5, v0
	;; [unrolled: 2-line block ×7, first 2 shown]
	v_add_co_ci_u32_e32 v41, vcc_lo, 0, v8, vcc_lo
	s_waitcnt vmcnt(9)
	v_lshrrev_b32_e32 v4, 16, v42
	s_waitcnt vmcnt(8)
	v_lshrrev_b32_e32 v9, 16, v43
	;; [unrolled: 2-line block ×10, first 2 shown]
	s_waitcnt lgkmcnt(14)
	v_mul_f16_e32 v84, v74, v57
	v_mul_f16_e32 v74, v27, v74
	;; [unrolled: 1-line block ×4, first 2 shown]
	s_waitcnt lgkmcnt(5)
	v_mul_f16_e32 v89, v79, v66
	v_mul_f16_e32 v79, v24, v79
	;; [unrolled: 1-line block ×16, first 2 shown]
	v_fmac_f16_e32 v84, v27, v47
	v_fma_f16 v27, v47, v57, -v74
	v_fmac_f16_e32 v83, v28, v46
	v_fma_f16 v28, v46, v56, -v73
	;; [unrolled: 2-line block ×10, first 2 shown]
	v_sub_f16_e32 v44, v18, v84
	v_sub_f16_e32 v27, v62, v27
	;; [unrolled: 1-line block ×3, first 2 shown]
	s_waitcnt lgkmcnt(4)
	v_sub_f16_e32 v28, v67, v28
	v_sub_f16_e32 v49, v12, v89
	s_waitcnt lgkmcnt(0)
	v_sub_f16_e32 v24, v71, v24
	v_sub_f16_e32 v48, v13, v88
	;; [unrolled: 1-line block ×15, first 2 shown]
	v_fma_f16 v18, v18, 2.0, -v44
	v_fma_f16 v54, v62, 2.0, -v27
	;; [unrolled: 1-line block ×20, first 2 shown]
	v_pack_b32_f16 v24, v49, v24
	v_pack_b32_f16 v18, v18, v54
	v_pack_b32_f16 v20, v48, v20
	v_pack_b32_f16 v16, v16, v53
	v_pack_b32_f16 v23, v47, v23
	v_pack_b32_f16 v28, v43, v28
	v_pack_b32_f16 v25, v46, v25
	v_pack_b32_f16 v12, v12, v59
	v_pack_b32_f16 v26, v45, v26
	v_pack_b32_f16 v13, v13, v58
	v_pack_b32_f16 v27, v44, v27
	v_pack_b32_f16 v29, v42, v29
	v_pack_b32_f16 v9, v31, v9
	v_pack_b32_f16 v4, v30, v4
	v_pack_b32_f16 v14, v14, v57
	v_pack_b32_f16 v17, v17, v56
	v_pack_b32_f16 v15, v15, v55
	s_clause 0x5
	global_store_b32 v[32:33], v24, off offset:2304
	global_store_b32 v[32:33], v20, off offset:2944
	;; [unrolled: 1-line block ×6, first 2 shown]
	v_pack_b32_f16 v19, v19, v52
	v_pack_b32_f16 v20, v21, v51
	;; [unrolled: 1-line block ×3, first 2 shown]
	s_clause 0xd
	global_store_b32 v[0:1], v18, off offset:3200
	global_store_b32 v[2:3], v16, off offset:3840
	;; [unrolled: 1-line block ×3, first 2 shown]
	global_store_b32 v[5:6], v12, off
	global_store_b32 v[5:6], v13, off offset:640
	global_store_b32 v[5:6], v14, off offset:1280
	;; [unrolled: 1-line block ×7, first 2 shown]
	global_store_b32 v[10:11], v20, off
	global_store_b32 v[7:8], v21, off
	global_store_b32 v[40:41], v4, off offset:2304
.LBB0_15:
	s_nop 0
	s_sendmsg sendmsg(MSG_DEALLOC_VGPRS)
	s_endpgm
	.section	.rodata,"a",@progbits
	.p2align	6, 0x0
	.amdhsa_kernel fft_rtc_back_len3200_factors_10_10_4_4_2_wgs_160_tpt_160_halfLds_half_ip_CI_unitstride_sbrr_dirReg
		.amdhsa_group_segment_fixed_size 0
		.amdhsa_private_segment_fixed_size 0
		.amdhsa_kernarg_size 88
		.amdhsa_user_sgpr_count 15
		.amdhsa_user_sgpr_dispatch_ptr 0
		.amdhsa_user_sgpr_queue_ptr 0
		.amdhsa_user_sgpr_kernarg_segment_ptr 1
		.amdhsa_user_sgpr_dispatch_id 0
		.amdhsa_user_sgpr_private_segment_size 0
		.amdhsa_wavefront_size32 1
		.amdhsa_uses_dynamic_stack 0
		.amdhsa_enable_private_segment 0
		.amdhsa_system_sgpr_workgroup_id_x 1
		.amdhsa_system_sgpr_workgroup_id_y 0
		.amdhsa_system_sgpr_workgroup_id_z 0
		.amdhsa_system_sgpr_workgroup_info 0
		.amdhsa_system_vgpr_workitem_id 0
		.amdhsa_next_free_vgpr 90
		.amdhsa_next_free_sgpr 21
		.amdhsa_reserve_vcc 1
		.amdhsa_float_round_mode_32 0
		.amdhsa_float_round_mode_16_64 0
		.amdhsa_float_denorm_mode_32 3
		.amdhsa_float_denorm_mode_16_64 3
		.amdhsa_dx10_clamp 1
		.amdhsa_ieee_mode 1
		.amdhsa_fp16_overflow 0
		.amdhsa_workgroup_processor_mode 1
		.amdhsa_memory_ordered 1
		.amdhsa_forward_progress 0
		.amdhsa_shared_vgpr_count 0
		.amdhsa_exception_fp_ieee_invalid_op 0
		.amdhsa_exception_fp_denorm_src 0
		.amdhsa_exception_fp_ieee_div_zero 0
		.amdhsa_exception_fp_ieee_overflow 0
		.amdhsa_exception_fp_ieee_underflow 0
		.amdhsa_exception_fp_ieee_inexact 0
		.amdhsa_exception_int_div_zero 0
	.end_amdhsa_kernel
	.text
.Lfunc_end0:
	.size	fft_rtc_back_len3200_factors_10_10_4_4_2_wgs_160_tpt_160_halfLds_half_ip_CI_unitstride_sbrr_dirReg, .Lfunc_end0-fft_rtc_back_len3200_factors_10_10_4_4_2_wgs_160_tpt_160_halfLds_half_ip_CI_unitstride_sbrr_dirReg
                                        ; -- End function
	.section	.AMDGPU.csdata,"",@progbits
; Kernel info:
; codeLenInByte = 12668
; NumSgprs: 23
; NumVgprs: 90
; ScratchSize: 0
; MemoryBound: 0
; FloatMode: 240
; IeeeMode: 1
; LDSByteSize: 0 bytes/workgroup (compile time only)
; SGPRBlocks: 2
; VGPRBlocks: 11
; NumSGPRsForWavesPerEU: 23
; NumVGPRsForWavesPerEU: 90
; Occupancy: 15
; WaveLimiterHint : 1
; COMPUTE_PGM_RSRC2:SCRATCH_EN: 0
; COMPUTE_PGM_RSRC2:USER_SGPR: 15
; COMPUTE_PGM_RSRC2:TRAP_HANDLER: 0
; COMPUTE_PGM_RSRC2:TGID_X_EN: 1
; COMPUTE_PGM_RSRC2:TGID_Y_EN: 0
; COMPUTE_PGM_RSRC2:TGID_Z_EN: 0
; COMPUTE_PGM_RSRC2:TIDIG_COMP_CNT: 0
	.text
	.p2alignl 7, 3214868480
	.fill 96, 4, 3214868480
	.type	__hip_cuid_56524f1adf86a7d5,@object ; @__hip_cuid_56524f1adf86a7d5
	.section	.bss,"aw",@nobits
	.globl	__hip_cuid_56524f1adf86a7d5
__hip_cuid_56524f1adf86a7d5:
	.byte	0                               ; 0x0
	.size	__hip_cuid_56524f1adf86a7d5, 1

	.ident	"AMD clang version 19.0.0git (https://github.com/RadeonOpenCompute/llvm-project roc-6.4.0 25133 c7fe45cf4b819c5991fe208aaa96edf142730f1d)"
	.section	".note.GNU-stack","",@progbits
	.addrsig
	.addrsig_sym __hip_cuid_56524f1adf86a7d5
	.amdgpu_metadata
---
amdhsa.kernels:
  - .args:
      - .actual_access:  read_only
        .address_space:  global
        .offset:         0
        .size:           8
        .value_kind:     global_buffer
      - .offset:         8
        .size:           8
        .value_kind:     by_value
      - .actual_access:  read_only
        .address_space:  global
        .offset:         16
        .size:           8
        .value_kind:     global_buffer
      - .actual_access:  read_only
        .address_space:  global
        .offset:         24
        .size:           8
        .value_kind:     global_buffer
      - .offset:         32
        .size:           8
        .value_kind:     by_value
      - .actual_access:  read_only
        .address_space:  global
        .offset:         40
        .size:           8
        .value_kind:     global_buffer
      - .actual_access:  read_only
        .address_space:  global
        .offset:         48
        .size:           8
        .value_kind:     global_buffer
      - .offset:         56
        .size:           4
        .value_kind:     by_value
      - .actual_access:  read_only
        .address_space:  global
        .offset:         64
        .size:           8
        .value_kind:     global_buffer
      - .actual_access:  read_only
        .address_space:  global
        .offset:         72
        .size:           8
        .value_kind:     global_buffer
      - .address_space:  global
        .offset:         80
        .size:           8
        .value_kind:     global_buffer
    .group_segment_fixed_size: 0
    .kernarg_segment_align: 8
    .kernarg_segment_size: 88
    .language:       OpenCL C
    .language_version:
      - 2
      - 0
    .max_flat_workgroup_size: 160
    .name:           fft_rtc_back_len3200_factors_10_10_4_4_2_wgs_160_tpt_160_halfLds_half_ip_CI_unitstride_sbrr_dirReg
    .private_segment_fixed_size: 0
    .sgpr_count:     23
    .sgpr_spill_count: 0
    .symbol:         fft_rtc_back_len3200_factors_10_10_4_4_2_wgs_160_tpt_160_halfLds_half_ip_CI_unitstride_sbrr_dirReg.kd
    .uniform_work_group_size: 1
    .uses_dynamic_stack: false
    .vgpr_count:     90
    .vgpr_spill_count: 0
    .wavefront_size: 32
    .workgroup_processor_mode: 1
amdhsa.target:   amdgcn-amd-amdhsa--gfx1100
amdhsa.version:
  - 1
  - 2
...

	.end_amdgpu_metadata
